;; amdgpu-corpus repo=ROCm/rocFFT kind=compiled arch=gfx1201 opt=O3
	.text
	.amdgcn_target "amdgcn-amd-amdhsa--gfx1201"
	.amdhsa_code_object_version 6
	.protected	fft_rtc_back_len480_factors_10_8_6_wgs_64_tpt_16_halfLds_sp_op_CI_CI_unitstride_sbrr_dirReg ; -- Begin function fft_rtc_back_len480_factors_10_8_6_wgs_64_tpt_16_halfLds_sp_op_CI_CI_unitstride_sbrr_dirReg
	.globl	fft_rtc_back_len480_factors_10_8_6_wgs_64_tpt_16_halfLds_sp_op_CI_CI_unitstride_sbrr_dirReg
	.p2align	8
	.type	fft_rtc_back_len480_factors_10_8_6_wgs_64_tpt_16_halfLds_sp_op_CI_CI_unitstride_sbrr_dirReg,@function
fft_rtc_back_len480_factors_10_8_6_wgs_64_tpt_16_halfLds_sp_op_CI_CI_unitstride_sbrr_dirReg: ; @fft_rtc_back_len480_factors_10_8_6_wgs_64_tpt_16_halfLds_sp_op_CI_CI_unitstride_sbrr_dirReg
; %bb.0:
	s_clause 0x2
	s_load_b128 s[8:11], s[0:1], 0x0
	s_load_b128 s[4:7], s[0:1], 0x58
	;; [unrolled: 1-line block ×3, first 2 shown]
	v_lshrrev_b32_e32 v23, 4, v0
	v_mov_b32_e32 v3, 0
	v_mov_b32_e32 v1, 0
	;; [unrolled: 1-line block ×3, first 2 shown]
	s_delay_alu instid0(VALU_DEP_4) | instskip(NEXT) | instid1(VALU_DEP_4)
	v_lshl_or_b32 v5, ttmp9, 2, v23
	v_mov_b32_e32 v6, v3
	s_wait_kmcnt 0x0
	v_cmp_lt_u64_e64 s2, s[10:11], 2
	s_delay_alu instid0(VALU_DEP_1)
	s_and_b32 vcc_lo, exec_lo, s2
	s_cbranch_vccnz .LBB0_8
; %bb.1:
	s_load_b64 s[2:3], s[0:1], 0x10
	v_mov_b32_e32 v1, 0
	v_mov_b32_e32 v2, 0
	s_add_nc_u64 s[16:17], s[14:15], 8
	s_add_nc_u64 s[18:19], s[12:13], 8
	s_mov_b64 s[20:21], 1
	s_delay_alu instid0(VALU_DEP_1)
	v_dual_mov_b32 v25, v2 :: v_dual_mov_b32 v24, v1
	s_wait_kmcnt 0x0
	s_add_nc_u64 s[22:23], s[2:3], 8
	s_mov_b32 s3, 0
.LBB0_2:                                ; =>This Inner Loop Header: Depth=1
	s_load_b64 s[24:25], s[22:23], 0x0
                                        ; implicit-def: $vgpr26_vgpr27
	s_mov_b32 s2, exec_lo
	s_wait_kmcnt 0x0
	v_or_b32_e32 v4, s25, v6
	s_delay_alu instid0(VALU_DEP_1)
	v_cmpx_ne_u64_e32 0, v[3:4]
	s_wait_alu 0xfffe
	s_xor_b32 s26, exec_lo, s2
	s_cbranch_execz .LBB0_4
; %bb.3:                                ;   in Loop: Header=BB0_2 Depth=1
	s_cvt_f32_u32 s2, s24
	s_cvt_f32_u32 s27, s25
	s_sub_nc_u64 s[30:31], 0, s[24:25]
	s_wait_alu 0xfffe
	s_delay_alu instid0(SALU_CYCLE_1) | instskip(SKIP_1) | instid1(SALU_CYCLE_2)
	s_fmamk_f32 s2, s27, 0x4f800000, s2
	s_wait_alu 0xfffe
	v_s_rcp_f32 s2, s2
	s_delay_alu instid0(TRANS32_DEP_1) | instskip(SKIP_1) | instid1(SALU_CYCLE_2)
	s_mul_f32 s2, s2, 0x5f7ffffc
	s_wait_alu 0xfffe
	s_mul_f32 s27, s2, 0x2f800000
	s_wait_alu 0xfffe
	s_delay_alu instid0(SALU_CYCLE_2) | instskip(SKIP_1) | instid1(SALU_CYCLE_2)
	s_trunc_f32 s27, s27
	s_wait_alu 0xfffe
	s_fmamk_f32 s2, s27, 0xcf800000, s2
	s_cvt_u32_f32 s29, s27
	s_wait_alu 0xfffe
	s_delay_alu instid0(SALU_CYCLE_1) | instskip(SKIP_1) | instid1(SALU_CYCLE_2)
	s_cvt_u32_f32 s28, s2
	s_wait_alu 0xfffe
	s_mul_u64 s[34:35], s[30:31], s[28:29]
	s_wait_alu 0xfffe
	s_mul_hi_u32 s37, s28, s35
	s_mul_i32 s36, s28, s35
	s_mul_hi_u32 s2, s28, s34
	s_mul_i32 s33, s29, s34
	s_wait_alu 0xfffe
	s_add_nc_u64 s[36:37], s[2:3], s[36:37]
	s_mul_hi_u32 s27, s29, s34
	s_mul_hi_u32 s38, s29, s35
	s_add_co_u32 s2, s36, s33
	s_wait_alu 0xfffe
	s_add_co_ci_u32 s2, s37, s27
	s_mul_i32 s34, s29, s35
	s_add_co_ci_u32 s35, s38, 0
	s_wait_alu 0xfffe
	s_add_nc_u64 s[34:35], s[2:3], s[34:35]
	s_wait_alu 0xfffe
	v_add_co_u32 v4, s2, s28, s34
	s_delay_alu instid0(VALU_DEP_1) | instskip(SKIP_1) | instid1(VALU_DEP_1)
	s_cmp_lg_u32 s2, 0
	s_add_co_ci_u32 s29, s29, s35
	v_readfirstlane_b32 s28, v4
	s_wait_alu 0xfffe
	s_delay_alu instid0(VALU_DEP_1)
	s_mul_u64 s[30:31], s[30:31], s[28:29]
	s_wait_alu 0xfffe
	s_mul_hi_u32 s35, s28, s31
	s_mul_i32 s34, s28, s31
	s_mul_hi_u32 s2, s28, s30
	s_mul_i32 s33, s29, s30
	s_wait_alu 0xfffe
	s_add_nc_u64 s[34:35], s[2:3], s[34:35]
	s_mul_hi_u32 s27, s29, s30
	s_mul_hi_u32 s28, s29, s31
	s_wait_alu 0xfffe
	s_add_co_u32 s2, s34, s33
	s_add_co_ci_u32 s2, s35, s27
	s_mul_i32 s30, s29, s31
	s_add_co_ci_u32 s31, s28, 0
	s_wait_alu 0xfffe
	s_add_nc_u64 s[30:31], s[2:3], s[30:31]
	s_wait_alu 0xfffe
	v_add_co_u32 v4, s2, v4, s30
	s_delay_alu instid0(VALU_DEP_1) | instskip(SKIP_1) | instid1(VALU_DEP_1)
	s_cmp_lg_u32 s2, 0
	s_add_co_ci_u32 s2, s29, s31
	v_mul_hi_u32 v13, v5, v4
	s_wait_alu 0xfffe
	v_mad_co_u64_u32 v[7:8], null, v5, s2, 0
	v_mad_co_u64_u32 v[9:10], null, v6, v4, 0
	;; [unrolled: 1-line block ×3, first 2 shown]
	s_delay_alu instid0(VALU_DEP_3) | instskip(SKIP_1) | instid1(VALU_DEP_4)
	v_add_co_u32 v4, vcc_lo, v13, v7
	s_wait_alu 0xfffd
	v_add_co_ci_u32_e32 v7, vcc_lo, 0, v8, vcc_lo
	s_delay_alu instid0(VALU_DEP_2) | instskip(SKIP_1) | instid1(VALU_DEP_2)
	v_add_co_u32 v4, vcc_lo, v4, v9
	s_wait_alu 0xfffd
	v_add_co_ci_u32_e32 v4, vcc_lo, v7, v10, vcc_lo
	s_wait_alu 0xfffd
	v_add_co_ci_u32_e32 v7, vcc_lo, 0, v12, vcc_lo
	s_delay_alu instid0(VALU_DEP_2) | instskip(SKIP_1) | instid1(VALU_DEP_2)
	v_add_co_u32 v4, vcc_lo, v4, v11
	s_wait_alu 0xfffd
	v_add_co_ci_u32_e32 v9, vcc_lo, 0, v7, vcc_lo
	s_delay_alu instid0(VALU_DEP_2) | instskip(SKIP_1) | instid1(VALU_DEP_3)
	v_mul_lo_u32 v10, s25, v4
	v_mad_co_u64_u32 v[7:8], null, s24, v4, 0
	v_mul_lo_u32 v11, s24, v9
	s_delay_alu instid0(VALU_DEP_2) | instskip(NEXT) | instid1(VALU_DEP_2)
	v_sub_co_u32 v7, vcc_lo, v5, v7
	v_add3_u32 v8, v8, v11, v10
	s_delay_alu instid0(VALU_DEP_1) | instskip(SKIP_1) | instid1(VALU_DEP_1)
	v_sub_nc_u32_e32 v10, v6, v8
	s_wait_alu 0xfffd
	v_subrev_co_ci_u32_e64 v10, s2, s25, v10, vcc_lo
	v_add_co_u32 v11, s2, v4, 2
	s_wait_alu 0xf1ff
	v_add_co_ci_u32_e64 v12, s2, 0, v9, s2
	v_sub_co_u32 v13, s2, v7, s24
	v_sub_co_ci_u32_e32 v8, vcc_lo, v6, v8, vcc_lo
	s_wait_alu 0xf1ff
	v_subrev_co_ci_u32_e64 v10, s2, 0, v10, s2
	s_delay_alu instid0(VALU_DEP_3) | instskip(NEXT) | instid1(VALU_DEP_3)
	v_cmp_le_u32_e32 vcc_lo, s24, v13
	v_cmp_eq_u32_e64 s2, s25, v8
	s_wait_alu 0xfffd
	v_cndmask_b32_e64 v13, 0, -1, vcc_lo
	v_cmp_le_u32_e32 vcc_lo, s25, v10
	s_wait_alu 0xfffd
	v_cndmask_b32_e64 v14, 0, -1, vcc_lo
	v_cmp_le_u32_e32 vcc_lo, s24, v7
	;; [unrolled: 3-line block ×3, first 2 shown]
	s_wait_alu 0xfffd
	v_cndmask_b32_e64 v15, 0, -1, vcc_lo
	v_cmp_eq_u32_e32 vcc_lo, s25, v10
	s_wait_alu 0xf1ff
	s_delay_alu instid0(VALU_DEP_2)
	v_cndmask_b32_e64 v7, v15, v7, s2
	s_wait_alu 0xfffd
	v_cndmask_b32_e32 v10, v14, v13, vcc_lo
	v_add_co_u32 v13, vcc_lo, v4, 1
	s_wait_alu 0xfffd
	v_add_co_ci_u32_e32 v14, vcc_lo, 0, v9, vcc_lo
	s_delay_alu instid0(VALU_DEP_3) | instskip(SKIP_1) | instid1(VALU_DEP_2)
	v_cmp_ne_u32_e32 vcc_lo, 0, v10
	s_wait_alu 0xfffd
	v_cndmask_b32_e32 v8, v14, v12, vcc_lo
	v_cndmask_b32_e32 v10, v13, v11, vcc_lo
	v_cmp_ne_u32_e32 vcc_lo, 0, v7
	s_wait_alu 0xfffd
	s_delay_alu instid0(VALU_DEP_2)
	v_dual_cndmask_b32 v27, v9, v8 :: v_dual_cndmask_b32 v26, v4, v10
.LBB0_4:                                ;   in Loop: Header=BB0_2 Depth=1
	s_wait_alu 0xfffe
	s_and_not1_saveexec_b32 s2, s26
	s_cbranch_execz .LBB0_6
; %bb.5:                                ;   in Loop: Header=BB0_2 Depth=1
	v_cvt_f32_u32_e32 v4, s24
	s_sub_co_i32 s26, 0, s24
	v_mov_b32_e32 v27, v3
	s_delay_alu instid0(VALU_DEP_2) | instskip(NEXT) | instid1(TRANS32_DEP_1)
	v_rcp_iflag_f32_e32 v4, v4
	v_mul_f32_e32 v4, 0x4f7ffffe, v4
	s_delay_alu instid0(VALU_DEP_1) | instskip(SKIP_1) | instid1(VALU_DEP_1)
	v_cvt_u32_f32_e32 v4, v4
	s_wait_alu 0xfffe
	v_mul_lo_u32 v7, s26, v4
	s_delay_alu instid0(VALU_DEP_1) | instskip(NEXT) | instid1(VALU_DEP_1)
	v_mul_hi_u32 v7, v4, v7
	v_add_nc_u32_e32 v4, v4, v7
	s_delay_alu instid0(VALU_DEP_1) | instskip(NEXT) | instid1(VALU_DEP_1)
	v_mul_hi_u32 v4, v5, v4
	v_mul_lo_u32 v7, v4, s24
	v_add_nc_u32_e32 v8, 1, v4
	s_delay_alu instid0(VALU_DEP_2) | instskip(NEXT) | instid1(VALU_DEP_1)
	v_sub_nc_u32_e32 v7, v5, v7
	v_subrev_nc_u32_e32 v9, s24, v7
	v_cmp_le_u32_e32 vcc_lo, s24, v7
	s_wait_alu 0xfffd
	s_delay_alu instid0(VALU_DEP_2) | instskip(NEXT) | instid1(VALU_DEP_1)
	v_dual_cndmask_b32 v7, v7, v9 :: v_dual_cndmask_b32 v4, v4, v8
	v_cmp_le_u32_e32 vcc_lo, s24, v7
	s_delay_alu instid0(VALU_DEP_2) | instskip(SKIP_1) | instid1(VALU_DEP_1)
	v_add_nc_u32_e32 v8, 1, v4
	s_wait_alu 0xfffd
	v_cndmask_b32_e32 v26, v4, v8, vcc_lo
.LBB0_6:                                ;   in Loop: Header=BB0_2 Depth=1
	s_wait_alu 0xfffe
	s_or_b32 exec_lo, exec_lo, s2
	v_mul_lo_u32 v4, v27, s24
	s_delay_alu instid0(VALU_DEP_2)
	v_mul_lo_u32 v9, v26, s25
	s_load_b64 s[26:27], s[18:19], 0x0
	v_mad_co_u64_u32 v[7:8], null, v26, s24, 0
	s_load_b64 s[24:25], s[16:17], 0x0
	s_add_nc_u64 s[20:21], s[20:21], 1
	s_add_nc_u64 s[16:17], s[16:17], 8
	s_wait_alu 0xfffe
	v_cmp_ge_u64_e64 s2, s[20:21], s[10:11]
	s_add_nc_u64 s[18:19], s[18:19], 8
	s_add_nc_u64 s[22:23], s[22:23], 8
	v_add3_u32 v4, v8, v9, v4
	v_sub_co_u32 v5, vcc_lo, v5, v7
	s_wait_alu 0xfffd
	s_delay_alu instid0(VALU_DEP_2) | instskip(SKIP_2) | instid1(VALU_DEP_1)
	v_sub_co_ci_u32_e32 v4, vcc_lo, v6, v4, vcc_lo
	s_and_b32 vcc_lo, exec_lo, s2
	s_wait_kmcnt 0x0
	v_mul_lo_u32 v6, s26, v4
	v_mul_lo_u32 v7, s27, v5
	v_mad_co_u64_u32 v[1:2], null, s26, v5, v[1:2]
	v_mul_lo_u32 v4, s24, v4
	v_mul_lo_u32 v8, s25, v5
	v_mad_co_u64_u32 v[24:25], null, s24, v5, v[24:25]
	s_delay_alu instid0(VALU_DEP_4) | instskip(NEXT) | instid1(VALU_DEP_2)
	v_add3_u32 v2, v7, v2, v6
	v_add3_u32 v25, v8, v25, v4
	s_wait_alu 0xfffe
	s_cbranch_vccnz .LBB0_9
; %bb.7:                                ;   in Loop: Header=BB0_2 Depth=1
	v_dual_mov_b32 v5, v26 :: v_dual_mov_b32 v6, v27
	s_branch .LBB0_2
.LBB0_8:
	v_dual_mov_b32 v25, v2 :: v_dual_mov_b32 v24, v1
	v_dual_mov_b32 v27, v6 :: v_dual_mov_b32 v26, v5
.LBB0_9:
	s_load_b64 s[0:1], s[0:1], 0x28
	v_and_b32_e32 v94, 15, v0
	s_lshl_b64 s[10:11], s[10:11], 3
                                        ; implicit-def: $vgpr95
                                        ; implicit-def: $vgpr96
                                        ; implicit-def: $vgpr97
	s_wait_kmcnt 0x0
	v_cmp_gt_u64_e32 vcc_lo, s[0:1], v[26:27]
	v_cmp_le_u64_e64 s0, s[0:1], v[26:27]
	s_delay_alu instid0(VALU_DEP_1)
	s_and_saveexec_b32 s1, s0
	s_wait_alu 0xfffe
	s_xor_b32 s0, exec_lo, s1
; %bb.10:
	v_and_b32_e32 v94, 15, v0
                                        ; implicit-def: $vgpr1_vgpr2
	s_delay_alu instid0(VALU_DEP_1)
	v_or_b32_e32 v95, 16, v94
	v_or_b32_e32 v96, 32, v94
	;; [unrolled: 1-line block ×3, first 2 shown]
; %bb.11:
	s_wait_alu 0xfffe
	s_or_saveexec_b32 s1, s0
	s_add_nc_u64 s[2:3], s[14:15], s[10:11]
                                        ; implicit-def: $vgpr37
                                        ; implicit-def: $vgpr59
                                        ; implicit-def: $vgpr65
                                        ; implicit-def: $vgpr69
                                        ; implicit-def: $vgpr61
                                        ; implicit-def: $vgpr67
                                        ; implicit-def: $vgpr71
                                        ; implicit-def: $vgpr63
                                        ; implicit-def: $vgpr73
                                        ; implicit-def: $vgpr10
                                        ; implicit-def: $vgpr20
                                        ; implicit-def: $vgpr43
                                        ; implicit-def: $vgpr53
                                        ; implicit-def: $vgpr45
                                        ; implicit-def: $vgpr47
                                        ; implicit-def: $vgpr55
                                        ; implicit-def: $vgpr51
                                        ; implicit-def: $vgpr57
                                        ; implicit-def: $vgpr8
                                        ; implicit-def: $vgpr5
                                        ; implicit-def: $vgpr22
                                        ; implicit-def: $vgpr35
                                        ; implicit-def: $vgpr14
                                        ; implicit-def: $vgpr39
                                        ; implicit-def: $vgpr18
                                        ; implicit-def: $vgpr41
                                        ; implicit-def: $vgpr16
                                        ; implicit-def: $vgpr12
                                        ; implicit-def: $vgpr49
                                        ; implicit-def: $vgpr75
	s_wait_alu 0xfffe
	s_xor_b32 exec_lo, exec_lo, s1
	s_cbranch_execz .LBB0_13
; %bb.12:
	s_add_nc_u64 s[10:11], s[12:13], s[10:11]
	v_or_b32_e32 v97, 48, v94
	s_load_b64 s[10:11], s[10:11], 0x0
	v_or_b32_e32 v95, 16, v94
	v_or_b32_e32 v96, 32, v94
	s_wait_kmcnt 0x0
	v_mul_lo_u32 v0, s11, v26
	v_mul_lo_u32 v5, s10, v27
	v_mad_co_u64_u32 v[3:4], null, s10, v26, 0
	s_delay_alu instid0(VALU_DEP_1) | instskip(SKIP_1) | instid1(VALU_DEP_2)
	v_add3_u32 v4, v4, v5, v0
	v_lshlrev_b64_e32 v[0:1], 3, v[1:2]
	v_lshlrev_b64_e32 v[3:4], 3, v[3:4]
	s_delay_alu instid0(VALU_DEP_1) | instskip(SKIP_1) | instid1(VALU_DEP_2)
	v_add_co_u32 v2, s0, s4, v3
	s_wait_alu 0xf1ff
	v_add_co_ci_u32_e64 v3, s0, s5, v4, s0
	v_lshlrev_b32_e32 v4, 3, v94
	s_delay_alu instid0(VALU_DEP_3) | instskip(SKIP_1) | instid1(VALU_DEP_3)
	v_add_co_u32 v0, s0, v2, v0
	s_wait_alu 0xf1ff
	v_add_co_ci_u32_e64 v1, s0, v3, v1, s0
	s_delay_alu instid0(VALU_DEP_2) | instskip(SKIP_1) | instid1(VALU_DEP_2)
	v_add_co_u32 v0, s0, v0, v4
	s_wait_alu 0xf1ff
	v_add_co_ci_u32_e64 v1, s0, 0, v1, s0
	s_clause 0x1d
	global_load_b64 v[36:37], v[0:1], off
	global_load_b64 v[9:10], v[0:1], off offset:128
	global_load_b64 v[19:20], v[0:1], off offset:512
	;; [unrolled: 1-line block ×29, first 2 shown]
.LBB0_13:
	s_or_b32 exec_lo, exec_lo, s1
	s_wait_loadcnt 0x11
	v_dual_add_f32 v1, v36, v64 :: v_dual_sub_f32 v2, v65, v63
	s_wait_loadcnt 0x9
	v_add_f32_e32 v0, v60, v70
	v_mul_u32_u24_e32 v76, 0x1e0, v23
	v_sub_f32_e32 v84, v49, v53
	v_add_f32_e32 v1, v1, v60
	v_sub_f32_e32 v3, v64, v60
	v_fma_f32 v33, -0.5, v0, v36
	v_sub_f32_e32 v0, v61, v71
	v_dual_add_f32 v23, v64, v62 :: v_dual_lshlrev_b32 v98, 2, v76
	s_wait_loadcnt 0x7
	v_add_f32_e32 v76, v54, v48
	v_fmamk_f32 v30, v2, 0xbf737871, v33
	v_dual_fmac_f32 v33, 0x3f737871, v2 :: v_dual_sub_f32 v78, v43, v51
	v_fmac_f32_e32 v36, -0.5, v23
	v_sub_f32_e32 v6, v62, v70
	v_dual_add_f32 v23, v58, v68 :: v_dual_sub_f32 v32, v68, v66
	s_delay_alu instid0(VALU_DEP_4) | instskip(NEXT) | instid1(VALU_DEP_3)
	v_fmac_f32_e32 v33, 0x3f167918, v0
	v_dual_fmac_f32 v30, 0xbf167918, v0 :: v_dual_add_f32 v3, v3, v6
	v_add_f32_e32 v1, v1, v70
	s_wait_loadcnt 0x5
	v_dual_add_f32 v6, v66, v74 :: v_dual_fmamk_f32 v31, v0, 0x3f737871, v36
	s_wait_loadcnt 0x3
	v_sub_f32_e32 v28, v69, v73
	v_dual_fmac_f32 v30, 0x3e9e377a, v3 :: v_dual_add_f32 v29, v1, v62
	v_fmac_f32_e32 v36, 0xbf737871, v0
	v_fmac_f32_e32 v33, 0x3e9e377a, v3
	v_dual_sub_f32 v1, v60, v64 :: v_dual_add_f32 v0, v23, v66
	v_sub_f32_e32 v3, v70, v62
	v_fma_f32 v6, -0.5, v6, v58
	v_sub_f32_e32 v77, v72, v74
	v_fmac_f32_e32 v36, 0x3f167918, v2
	v_add_f32_e32 v0, v0, v74
	v_fma_f32 v110, -0.5, v76, v19
	v_fmamk_f32 v23, v28, 0xbf737871, v6
	v_fmac_f32_e32 v6, 0x3f737871, v28
	v_dual_fmac_f32 v31, 0xbf167918, v2 :: v_dual_add_f32 v32, v32, v77
	v_dual_add_f32 v2, v68, v72 :: v_dual_add_f32 v1, v1, v3
	v_add_f32_e32 v77, v72, v0
	v_sub_f32_e32 v3, v67, v75
	v_add_f32_e32 v0, v67, v75
	s_delay_alu instid0(VALU_DEP_4)
	v_fmac_f32_e32 v58, -0.5, v2
	v_fmac_f32_e32 v36, 0x3e9e377a, v1
	v_dual_fmac_f32 v31, 0x3e9e377a, v1 :: v_dual_sub_f32 v2, v74, v72
	v_fmac_f32_e32 v23, 0xbf167918, v3
	v_dual_sub_f32 v1, v66, v68 :: v_dual_fmac_f32 v6, 0x3f167918, v3
	v_fmamk_f32 v105, v3, 0x3f737871, v58
	v_fma_f32 v106, -0.5, v0, v59
	v_sub_f32_e32 v0, v68, v72
	v_fmac_f32_e32 v23, 0x3e9e377a, v32
	v_dual_add_f32 v1, v1, v2 :: v_dual_fmac_f32 v6, 0x3e9e377a, v32
	v_dual_add_f32 v2, v69, v73 :: v_dual_fmac_f32 v105, 0xbf167918, v28
	s_delay_alu instid0(VALU_DEP_4) | instskip(SKIP_1) | instid1(VALU_DEP_3)
	v_dual_sub_f32 v66, v66, v74 :: v_dual_fmamk_f32 v107, v0, 0x3f737871, v106
	v_sub_f32_e32 v32, v67, v69
	v_fma_f32 v108, -0.5, v2, v59
	v_sub_f32_e32 v2, v69, v67
	v_sub_f32_e32 v68, v75, v73
	v_fmac_f32_e32 v58, 0xbf737871, v3
	v_fmac_f32_e32 v107, 0x3f167918, v66
	v_sub_f32_e32 v3, v73, v75
	v_fmamk_f32 v109, v66, 0xbf737871, v108
	v_fmac_f32_e32 v108, 0x3f737871, v66
	v_fmac_f32_e32 v105, 0x3e9e377a, v1
	v_fmac_f32_e32 v106, 0xbf737871, v0
	s_delay_alu instid0(VALU_DEP_4)
	v_dual_add_f32 v2, v2, v3 :: v_dual_fmac_f32 v109, 0x3f167918, v0
	v_add_f32_e32 v3, v32, v68
	v_fmac_f32_e32 v108, 0xbf167918, v0
	v_fmac_f32_e32 v58, 0x3f167918, v28
	v_add_f32_e32 v0, v29, v77
	v_sub_f32_e32 v29, v29, v77
	v_sub_f32_e32 v77, v45, v47
	s_delay_alu instid0(VALU_DEP_4) | instskip(SKIP_3) | instid1(VALU_DEP_4)
	v_dual_fmac_f32 v109, 0x3e9e377a, v3 :: v_dual_fmac_f32 v58, 0x3e9e377a, v1
	v_fmac_f32_e32 v106, 0xbf167918, v66
	v_sub_f32_e32 v79, v50, v46
	v_fmac_f32_e32 v107, 0x3e9e377a, v2
	v_dual_mul_f32 v66, 0xbf737871, v109 :: v_dual_add_f32 v81, v9, v42
	s_delay_alu instid0(VALU_DEP_4)
	v_fmac_f32_e32 v106, 0x3e9e377a, v2
	v_add_f32_e32 v28, v44, v46
	s_wait_loadcnt 0x1
	v_sub_f32_e32 v76, v53, v57
	v_fmac_f32_e32 v66, 0x3e9e377a, v105
	v_dual_add_f32 v80, v42, v50 :: v_dual_sub_f32 v83, v57, v55
	v_fma_f32 v74, -0.5, v28, v9
	v_sub_f32_e32 v82, v52, v48
	s_delay_alu instid0(VALU_DEP_4) | instskip(SKIP_4) | instid1(VALU_DEP_4)
	v_add_f32_e32 v2, v31, v66
	v_dual_sub_f32 v31, v31, v66 :: v_dual_fmac_f32 v108, 0x3e9e377a, v3
	v_dual_fmac_f32 v9, -0.5, v80 :: v_dual_sub_f32 v80, v49, v55
	v_fmamk_f32 v66, v78, 0xbf737871, v74
	v_fmac_f32_e32 v74, 0x3f737871, v78
	v_dual_mul_f32 v68, 0xbf737871, v108 :: v_dual_sub_f32 v85, v55, v57
	v_cmp_gt_u32_e64 s0, 12, v94
	s_delay_alu instid0(VALU_DEP_4) | instskip(NEXT) | instid1(VALU_DEP_4)
	v_fmac_f32_e32 v66, 0xbf167918, v77
	v_fmac_f32_e32 v74, 0x3f167918, v77
	s_delay_alu instid0(VALU_DEP_4) | instskip(SKIP_3) | instid1(VALU_DEP_3)
	v_fmac_f32_e32 v68, 0xbe9e377a, v58
	v_mul_f32_e32 v32, 0xbf167918, v107
                                        ; implicit-def: $vgpr104
	v_sub_f32_e32 v87, v35, v39
	v_lshlrev_b32_e32 v99, 2, v97
	v_dual_add_f32 v3, v36, v68 :: v_dual_fmac_f32 v32, 0x3f4f1bbd, v23
	s_delay_alu instid0(VALU_DEP_1) | instskip(SKIP_2) | instid1(VALU_DEP_1)
	v_add_f32_e32 v1, v30, v32
	v_sub_f32_e32 v30, v30, v32
	v_sub_f32_e32 v32, v42, v44
	v_dual_add_f32 v79, v32, v79 :: v_dual_mul_f32 v72, 0xbf167918, v106
	v_sub_f32_e32 v32, v36, v68
	v_fmamk_f32 v68, v77, 0x3f737871, v9
	v_sub_f32_e32 v36, v44, v42
	s_delay_alu instid0(VALU_DEP_4) | instskip(SKIP_4) | instid1(VALU_DEP_4)
	v_fmac_f32_e32 v66, 0x3e9e377a, v79
	v_fmac_f32_e32 v72, 0xbf4f1bbd, v6
	;; [unrolled: 1-line block ×4, first 2 shown]
	v_mul_u32_u24_e32 v77, 10, v94
	v_dual_add_f32 v28, v33, v72 :: v_dual_add_nc_u32 v79, 0, v98
	v_sub_f32_e32 v33, v33, v72
	s_delay_alu instid0(VALU_DEP_4) | instskip(SKIP_3) | instid1(VALU_DEP_3)
	v_fmac_f32_e32 v9, 0x3f167918, v78
	v_sub_f32_e32 v72, v46, v50
	v_fmac_f32_e32 v68, 0xbf167918, v78
	v_add_f32_e32 v78, v19, v52
	v_add_f32_e32 v72, v36, v72
	v_lshl_add_u32 v36, v77, 2, v79
	v_add_f32_e32 v77, v52, v56
	s_delay_alu instid0(VALU_DEP_3) | instskip(NEXT) | instid1(VALU_DEP_2)
	v_fmac_f32_e32 v9, 0x3e9e377a, v72
	v_dual_fmamk_f32 v112, v76, 0xbf737871, v110 :: v_dual_fmac_f32 v19, -0.5, v77
	v_dual_sub_f32 v77, v56, v54 :: v_dual_fmac_f32 v110, 0x3f737871, v76
	v_fmac_f32_e32 v68, 0x3e9e377a, v72
	ds_store_2addr_b64 v36, v[0:1], v[2:3] offset1:1
	ds_store_2addr_b64 v36, v[28:29], v[30:31] offset0:2 offset1:3
	v_add_f32_e32 v2, v81, v44
	v_add_f32_e32 v3, v78, v48
	v_fmac_f32_e32 v110, 0x3f167918, v80
	s_wait_loadcnt 0x0
	v_sub_f32_e32 v78, v16, v18
	v_dual_fmac_f32 v112, 0xbf167918, v80 :: v_dual_sub_f32 v81, v11, v15
	v_dual_add_f32 v72, v77, v82 :: v_dual_sub_f32 v77, v48, v52
	v_dual_sub_f32 v82, v54, v56 :: v_dual_fmamk_f32 v111, v80, 0x3f737871, v19
	v_add_f32_e32 v1, v85, v84
	s_delay_alu instid0(VALU_DEP_3)
	v_fmac_f32_e32 v112, 0x3e9e377a, v72
	v_fmac_f32_e32 v110, 0x3e9e377a, v72
	v_sub_f32_e32 v84, v13, v17
	v_sub_f32_e32 v85, v22, v41
	v_add_f32_e32 v72, v82, v77
	v_dual_sub_f32 v82, v53, v49 :: v_dual_fmac_f32 v111, 0xbf167918, v76
	v_sub_f32_e32 v77, v48, v54
	v_dual_sub_f32 v52, v52, v56 :: v_dual_add_f32 v3, v54, v3
	s_delay_alu instid0(VALU_DEP_3) | instskip(NEXT) | instid1(VALU_DEP_4)
	v_add_f32_e32 v0, v83, v82
	v_dual_add_f32 v82, v4, v11 :: v_dual_fmac_f32 v111, 0x3e9e377a, v72
	v_dual_fmac_f32 v19, 0xbf737871, v80 :: v_dual_add_f32 v80, v53, v57
	s_delay_alu instid0(VALU_DEP_2) | instskip(SKIP_1) | instid1(VALU_DEP_3)
	v_dual_sub_f32 v83, v12, v16 :: v_dual_add_f32 v82, v13, v82
	v_add_f32_e32 v31, v56, v3
	v_fmac_f32_e32 v19, 0x3f167918, v76
	s_delay_alu instid0(VALU_DEP_4)
	v_fma_f32 v114, -0.5, v80, v20
	v_add_f32_e32 v2, v2, v46
	v_add_f32_e32 v82, v17, v82
	v_sub_f32_e32 v54, v40, v38
	v_sub_f32_e32 v56, v11, v13
	v_mul_i32_i24_e32 v48, 10, v95
	v_add_f32_e32 v30, v2, v50
	v_add_f32_e32 v82, v15, v82
	v_fmamk_f32 v116, v77, 0xbf737871, v114
	v_fmac_f32_e32 v114, 0x3f737871, v77
	v_lshl_add_u32 v48, v48, 2, v79
	s_delay_alu instid0(VALU_DEP_3) | instskip(NEXT) | instid1(VALU_DEP_3)
	v_fmac_f32_e32 v116, 0x3f167918, v52
	v_fmac_f32_e32 v114, 0xbf167918, v52
	s_delay_alu instid0(VALU_DEP_2) | instskip(NEXT) | instid1(VALU_DEP_2)
	v_fmac_f32_e32 v116, 0x3e9e377a, v1
	v_fmac_f32_e32 v114, 0x3e9e377a, v1
	s_delay_alu instid0(VALU_DEP_2) | instskip(NEXT) | instid1(VALU_DEP_1)
	v_mul_f32_e32 v28, 0xbf737871, v116
	v_fmac_f32_e32 v28, 0x3e9e377a, v111
	s_delay_alu instid0(VALU_DEP_1)
	v_dual_sub_f32 v3, v68, v28 :: v_dual_add_f32 v76, v55, v49
	v_fmac_f32_e32 v19, 0x3e9e377a, v72
	v_add_f32_e32 v28, v68, v28
	v_sub_f32_e32 v68, v15, v17
	v_mul_f32_e32 v72, 0xbf737871, v114
	v_fma_f32 v113, -0.5, v76, v20
	s_delay_alu instid0(VALU_DEP_3) | instskip(NEXT) | instid1(VALU_DEP_3)
	v_add_f32_e32 v68, v68, v56
	v_fmac_f32_e32 v72, 0xbe9e377a, v19
	s_delay_alu instid0(VALU_DEP_3) | instskip(SKIP_1) | instid1(VALU_DEP_3)
	v_fmamk_f32 v115, v52, 0x3f737871, v113
	v_dual_fmac_f32 v113, 0xbf737871, v52 :: v_dual_sub_f32 v52, v21, v34
	v_add_f32_e32 v29, v9, v72
	s_delay_alu instid0(VALU_DEP_3) | instskip(NEXT) | instid1(VALU_DEP_3)
	v_fmac_f32_e32 v115, 0x3f167918, v77
	v_fmac_f32_e32 v113, 0xbf167918, v77
	v_sub_f32_e32 v77, v12, v14
	s_delay_alu instid0(VALU_DEP_3) | instskip(NEXT) | instid1(VALU_DEP_3)
	v_fmac_f32_e32 v115, 0x3e9e377a, v0
	v_fmac_f32_e32 v113, 0x3e9e377a, v0
	s_delay_alu instid0(VALU_DEP_3) | instskip(SKIP_4) | instid1(VALU_DEP_2)
	v_add_f32_e32 v77, v78, v77
	v_sub_f32_e32 v78, v14, v18
	v_add_f32_e32 v0, v30, v31
	v_mul_f32_e32 v2, 0xbf167918, v115
	v_dual_mul_f32 v76, 0xbf167918, v113 :: v_dual_sub_f32 v31, v30, v31
	v_fmac_f32_e32 v2, 0x3f4f1bbd, v112
	s_delay_alu instid0(VALU_DEP_1) | instskip(SKIP_4) | instid1(VALU_DEP_2)
	v_add_f32_e32 v1, v66, v2
	v_sub_f32_e32 v2, v66, v2
	v_add_f32_e32 v66, v52, v54
	v_add_f32_e32 v52, v34, v38
	;; [unrolled: 1-line block ×3, first 2 shown]
	v_fma_f32 v80, -0.5, v52, v7
	v_add_f32_e32 v52, v13, v17
	s_delay_alu instid0(VALU_DEP_3) | instskip(NEXT) | instid1(VALU_DEP_3)
	v_fma_f32 v54, -0.5, v54, v5
	v_fmamk_f32 v86, v85, 0xbf737871, v80
	s_delay_alu instid0(VALU_DEP_3) | instskip(NEXT) | instid1(VALU_DEP_3)
	v_fma_f32 v52, -0.5, v52, v4
	v_fmamk_f32 v117, v81, 0x3f737871, v54
	v_fmac_f32_e32 v54, 0xbf737871, v81
	v_fmac_f32_e32 v80, 0x3f737871, v85
	;; [unrolled: 1-line block ×3, first 2 shown]
	v_fmamk_f32 v56, v83, 0xbf737871, v52
	v_fmac_f32_e32 v52, 0x3f737871, v83
	v_fmac_f32_e32 v54, 0xbf167918, v84
	v_dual_fmac_f32 v117, 0x3f167918, v84 :: v_dual_fmac_f32 v80, 0x3f167918, v87
	s_delay_alu instid0(VALU_DEP_4) | instskip(NEXT) | instid1(VALU_DEP_4)
	v_fmac_f32_e32 v56, 0xbf167918, v78
	v_fmac_f32_e32 v52, 0x3f167918, v78
	s_delay_alu instid0(VALU_DEP_4) | instskip(SKIP_1) | instid1(VALU_DEP_4)
	v_fmac_f32_e32 v54, 0x3e9e377a, v77
	v_add_f32_e32 v30, v7, v21
	v_dual_fmac_f32 v117, 0x3e9e377a, v77 :: v_dual_fmac_f32 v56, 0x3e9e377a, v68
	s_delay_alu instid0(VALU_DEP_4) | instskip(SKIP_1) | instid1(VALU_DEP_3)
	v_fmac_f32_e32 v52, 0x3e9e377a, v68
	v_fmac_f32_e32 v76, 0xbf4f1bbd, v110
	v_dual_add_f32 v30, v30, v34 :: v_dual_mul_f32 v89, 0xbf167918, v117
	s_delay_alu instid0(VALU_DEP_1) | instskip(NEXT) | instid1(VALU_DEP_3)
	v_add_f32_e32 v88, v30, v38
	v_add_f32_e32 v30, v74, v76
	ds_store_b64 v36, v[32:33] offset:32
	ds_store_2addr_b64 v48, v[0:1], v[28:29] offset1:1
	ds_store_2addr_b64 v48, v[30:31], v[2:3] offset0:2 offset1:3
	v_add_f32_e32 v0, v21, v40
	v_sub_f32_e32 v3, v38, v40
	v_dual_sub_f32 v28, v9, v72 :: v_dual_add_f32 v9, v15, v11
	v_add_f32_e32 v88, v88, v40
	s_delay_alu instid0(VALU_DEP_4) | instskip(NEXT) | instid1(VALU_DEP_3)
	v_dual_fmac_f32 v7, -0.5, v0 :: v_dual_sub_f32 v0, v34, v21
	v_dual_fmac_f32 v89, 0x3f4f1bbd, v56 :: v_dual_fmac_f32 v4, -0.5, v9
	s_delay_alu instid0(VALU_DEP_3) | instskip(NEXT) | instid1(VALU_DEP_3)
	v_dual_sub_f32 v9, v13, v11 :: v_dual_add_f32 v30, v88, v82
	v_add_f32_e32 v0, v0, v3
	s_delay_alu instid0(VALU_DEP_3) | instskip(SKIP_3) | instid1(VALU_DEP_4)
	v_dual_add_f32 v3, v16, v12 :: v_dual_fmamk_f32 v118, v78, 0x3f737871, v4
	v_fmac_f32_e32 v4, 0xbf737871, v78
	v_sub_f32_e32 v1, v88, v82
	v_lshl_add_u32 v72, v95, 2, v79
	v_fma_f32 v13, -0.5, v3, v5
	v_sub_f32_e32 v3, v17, v15
	v_sub_f32_e32 v15, v14, v12
	v_dual_sub_f32 v17, v18, v16 :: v_dual_fmac_f32 v118, 0xbf167918, v83
	s_delay_alu instid0(VALU_DEP_4) | instskip(NEXT) | instid1(VALU_DEP_4)
	v_fmamk_f32 v11, v84, 0xbf737871, v13
	v_add_f32_e32 v3, v3, v9
	v_fmac_f32_e32 v13, 0x3f737871, v84
	s_delay_alu instid0(VALU_DEP_4) | instskip(SKIP_2) | instid1(VALU_DEP_4)
	v_add_f32_e32 v9, v17, v15
	v_mul_f32_e32 v17, 0xbf167918, v54
	v_dual_fmac_f32 v11, 0x3f167918, v81 :: v_dual_fmac_f32 v4, 0x3f167918, v83
	v_fmac_f32_e32 v13, 0xbf167918, v81
	v_fmac_f32_e32 v118, 0x3e9e377a, v3
	s_delay_alu instid0(VALU_DEP_4)
	v_fmac_f32_e32 v17, 0xbf4f1bbd, v52
	v_sub_f32_e32 v29, v74, v76
	v_fmac_f32_e32 v11, 0x3e9e377a, v9
	v_dual_fmac_f32 v13, 0x3e9e377a, v9 :: v_dual_fmac_f32 v4, 0x3e9e377a, v3
	v_lshl_add_u32 v74, v96, 2, v79
	ds_store_b64 v48, v[28:29] offset:32
	v_fmamk_f32 v28, v87, 0x3f737871, v7
	v_fmac_f32_e32 v7, 0xbf737871, v87
	v_mul_f32_e32 v9, 0xbf737871, v11
	v_mul_f32_e32 v15, 0xbf737871, v13
	v_fmac_f32_e32 v86, 0x3e9e377a, v66
	v_fmac_f32_e32 v28, 0xbf167918, v85
	;; [unrolled: 1-line block ×8, first 2 shown]
	v_mul_i32_i24_e32 v0, 10, v96
	v_add_f32_e32 v31, v86, v89
	v_sub_f32_e32 v29, v80, v17
	v_sub_f32_e32 v3, v28, v9
	v_dual_add_f32 v32, v28, v9 :: v_dual_add_f32 v33, v7, v15
	v_dual_sub_f32 v28, v7, v15 :: v_dual_lshlrev_b32 v7, 2, v94
	v_lshl_add_u32 v9, v0, 2, v79
	v_sub_f32_e32 v2, v86, v89
	v_add_f32_e32 v0, v80, v17
	s_load_b64 s[2:3], s[2:3], 0x0
	v_add_nc_u32_e32 v66, v79, v7
	v_add3_u32 v68, 0, v7, v98
	ds_store_2addr_b64 v9, v[30:31], v[32:33] offset1:1
	ds_store_2addr_b64 v9, v[0:1], v[2:3] offset0:2 offset1:3
	ds_store_b64 v9, v[28:29] offset:32
	global_wb scope:SCOPE_SE
	s_wait_dscnt 0x0
	s_wait_kmcnt 0x0
	s_barrier_signal -1
	s_barrier_wait -1
	global_inv scope:SCOPE_SE
	ds_load_b32 v103, v66
	v_add_nc_u32_e32 v15, 0x400, v68
	ds_load_b32 v100, v74
	ds_load_b32 v101, v72
	ds_load_b32 v102, v68 offset:1808
	ds_load_2addr_b32 v[92:93], v68 offset0:60 offset1:76
	ds_load_2addr_b32 v[88:89], v68 offset0:92 offset1:120
	;; [unrolled: 1-line block ×8, first 2 shown]
	ds_load_2addr_b32 v[32:33], v15 offset1:16
	ds_load_2addr_b32 v[78:79], v15 offset0:120 offset1:136
                                        ; implicit-def: $vgpr83
	s_and_saveexec_b32 s1, s0
	s_cbranch_execz .LBB0_15
; %bb.14:
	v_add_nc_u32_e32 v0, 0x200, v68
	ds_load_2addr_b32 v[28:29], v0 offset0:100 offset1:160
	v_add3_u32 v0, 0, v99, v98
	ds_load_2addr_b32 v[82:83], v15 offset0:92 offset1:152
	ds_load_2addr_b32 v[1:2], v68 offset0:108 offset1:168
	ds_load_b32 v0, v0
	ds_load_b32 v104, v68 offset:1872
	s_wait_dscnt 0x4
	v_dual_mov_b32 v3, v28 :: v_dual_mov_b32 v28, v29
	s_wait_dscnt 0x3
	v_mov_b32_e32 v29, v82
.LBB0_15:
	s_wait_alu 0xfffe
	s_or_b32 exec_lo, exec_lo, s1
	v_dual_add_f32 v7, v37, v65 :: v_dual_sub_f32 v62, v64, v62
	v_dual_add_f32 v17, v61, v71 :: v_dual_sub_f32 v60, v60, v70
	v_sub_f32_e32 v21, v21, v40
	v_add_f32_e32 v5, v5, v12
	global_wb scope:SCOPE_SE
	s_wait_dscnt 0x0
	v_fma_f32 v17, -0.5, v17, v37
	v_add_f32_e32 v7, v7, v61
	v_dual_sub_f32 v82, v63, v71 :: v_dual_add_f32 v5, v14, v5
	s_barrier_signal -1
	s_delay_alu instid0(VALU_DEP_3) | instskip(NEXT) | instid1(VALU_DEP_3)
	v_fmamk_f32 v70, v62, 0x3f737871, v17
	v_dual_sub_f32 v64, v65, v61 :: v_dual_add_f32 v7, v7, v71
	v_fmac_f32_e32 v17, 0xbf737871, v62
	s_delay_alu instid0(VALU_DEP_3) | instskip(NEXT) | instid1(VALU_DEP_3)
	v_dual_add_f32 v119, v65, v63 :: v_dual_fmac_f32 v70, 0x3f167918, v60
	v_dual_add_f32 v64, v64, v82 :: v_dual_sub_f32 v61, v61, v65
	v_dual_mul_f32 v65, 0x3e9e377a, v109 :: v_dual_sub_f32 v42, v42, v50
	s_delay_alu instid0(VALU_DEP_3) | instskip(NEXT) | instid1(VALU_DEP_3)
	v_fmac_f32_e32 v37, -0.5, v119
	v_dual_add_f32 v7, v7, v63 :: v_dual_fmac_f32 v70, 0x3e9e377a, v64
	s_delay_alu instid0(VALU_DEP_3) | instskip(NEXT) | instid1(VALU_DEP_3)
	v_dual_fmac_f32 v65, 0x3f737871, v105 :: v_dual_sub_f32 v50, v51, v47
	v_dual_fmamk_f32 v82, v60, 0xbf737871, v37 :: v_dual_add_f32 v59, v59, v69
	v_fmac_f32_e32 v37, 0x3f737871, v60
	v_add_f32_e32 v5, v18, v5
	s_barrier_wait -1
	s_delay_alu instid0(VALU_DEP_3) | instskip(SKIP_3) | instid1(VALU_DEP_4)
	v_dual_fmac_f32 v82, 0x3f167918, v62 :: v_dual_sub_f32 v63, v71, v63
	v_fmac_f32_e32 v17, 0xbf167918, v60
	v_fmac_f32_e32 v37, 0xbf167918, v62
	v_dual_add_f32 v59, v59, v67 :: v_dual_mul_f32 v62, 0x3f4f1bbd, v106
	v_add_f32_e32 v60, v61, v63
	v_sub_f32_e32 v44, v44, v46
	v_add_f32_e32 v5, v16, v5
	global_inv scope:SCOPE_SE
	v_fma_f32 v6, 0x3f167918, v6, -v62
	v_fmac_f32_e32 v82, 0x3e9e377a, v60
	v_fmac_f32_e32 v37, 0x3e9e377a, v60
	v_dual_mul_f32 v60, 0x3e9e377a, v108 :: v_dual_add_f32 v59, v59, v75
	v_dual_sub_f32 v46, v43, v45 :: v_dual_add_f32 v63, v45, v47
	v_sub_f32_e32 v40, v41, v39
	s_delay_alu instid0(VALU_DEP_3) | instskip(NEXT) | instid1(VALU_DEP_3)
	v_fma_f32 v58, 0x3f737871, v58, -v60
	v_dual_mul_f32 v23, 0x3f167918, v23 :: v_dual_add_f32 v46, v46, v50
	s_delay_alu instid0(VALU_DEP_4) | instskip(SKIP_1) | instid1(VALU_DEP_3)
	v_fma_f32 v71, -0.5, v63, v10
	v_mul_f32_e32 v14, 0x3f4f1bbd, v117
	v_dual_add_f32 v62, v37, v58 :: v_dual_fmac_f32 v23, 0x3f4f1bbd, v107
	v_dual_fmac_f32 v17, 0x3e9e377a, v64 :: v_dual_add_f32 v64, v73, v59
	v_sub_f32_e32 v105, v37, v58
	v_sub_f32_e32 v37, v47, v51
	s_delay_alu instid0(VALU_DEP_4) | instskip(NEXT) | instid1(VALU_DEP_4)
	v_add_f32_e32 v60, v70, v23
	v_dual_add_f32 v61, v82, v65 :: v_dual_sub_f32 v106, v17, v6
	v_add_f32_e32 v59, v7, v64
	v_sub_f32_e32 v69, v70, v23
	v_dual_sub_f32 v70, v82, v65 :: v_dual_add_f32 v65, v43, v51
	v_dual_add_f32 v67, v10, v43 :: v_dual_sub_f32 v64, v7, v64
	v_mul_f32_e32 v18, 0x3f737871, v118
	v_fmac_f32_e32 v14, 0x3f167918, v56
	s_delay_alu instid0(VALU_DEP_4) | instskip(NEXT) | instid1(VALU_DEP_3)
	v_fmac_f32_e32 v10, -0.5, v65
	v_dual_add_f32 v7, v67, v45 :: v_dual_fmac_f32 v18, 0x3e9e377a, v11
	s_delay_alu instid0(VALU_DEP_1) | instskip(SKIP_3) | instid1(VALU_DEP_4)
	v_add_f32_e32 v7, v7, v47
	v_add_f32_e32 v63, v17, v6
	v_dual_add_f32 v17, v20, v53 :: v_dual_sub_f32 v20, v45, v43
	v_fmamk_f32 v23, v42, 0x3f737871, v71
	v_dual_fmac_f32 v71, 0xbf737871, v42 :: v_dual_add_f32 v6, v7, v51
	s_delay_alu instid0(VALU_DEP_3) | instskip(NEXT) | instid1(VALU_DEP_4)
	v_add_f32_e32 v17, v17, v49
	v_dual_add_f32 v20, v20, v37 :: v_dual_mul_f32 v37, 0x3f167918, v112
	v_add_f32_e32 v51, v35, v39
	s_delay_alu instid0(VALU_DEP_3) | instskip(NEXT) | instid1(VALU_DEP_3)
	v_add_f32_e32 v17, v55, v17
	v_fmac_f32_e32 v37, 0x3f4f1bbd, v115
	v_fmac_f32_e32 v71, 0xbf167918, v44
	s_delay_alu instid0(VALU_DEP_3) | instskip(SKIP_1) | instid1(VALU_DEP_3)
	v_add_f32_e32 v17, v57, v17
	v_fmac_f32_e32 v23, 0x3f167918, v44
	v_fmac_f32_e32 v71, 0x3e9e377a, v46
	v_fmamk_f32 v7, v44, 0xbf737871, v10
	v_fmac_f32_e32 v10, 0x3f737871, v44
	v_mul_f32_e32 v44, 0x3f4f1bbd, v113
	s_delay_alu instid0(VALU_DEP_2) | instskip(NEXT) | instid1(VALU_DEP_2)
	v_dual_sub_f32 v45, v6, v17 :: v_dual_fmac_f32 v10, 0xbf167918, v42
	v_fma_f32 v50, 0x3f167918, v110, -v44
	s_delay_alu instid0(VALU_DEP_2) | instskip(NEXT) | instid1(VALU_DEP_2)
	v_fmac_f32_e32 v10, 0x3e9e377a, v20
	v_add_f32_e32 v44, v71, v50
	v_dual_fmac_f32 v7, 0x3f167918, v42 :: v_dual_add_f32 v42, v6, v17
	v_fma_f32 v17, -0.5, v51, v8
	s_delay_alu instid0(VALU_DEP_2) | instskip(NEXT) | instid1(VALU_DEP_1)
	v_dual_fmac_f32 v7, 0x3e9e377a, v20 :: v_dual_mul_f32 v20, 0x3e9e377a, v114
	v_fma_f32 v49, 0x3f737871, v19, -v20
	v_fmac_f32_e32 v23, 0x3e9e377a, v46
	v_add_f32_e32 v46, v8, v22
	s_delay_alu instid0(VALU_DEP_3) | instskip(NEXT) | instid1(VALU_DEP_2)
	v_add_f32_e32 v20, v10, v49
	v_dual_add_f32 v43, v23, v37 :: v_dual_add_f32 v6, v46, v35
	v_sub_f32_e32 v46, v23, v37
	v_sub_f32_e32 v37, v10, v49
	v_add_f32_e32 v10, v22, v41
	v_sub_f32_e32 v23, v34, v38
	v_dual_add_f32 v6, v6, v39 :: v_dual_mul_f32 v47, 0x3e9e377a, v116
	v_sub_f32_e32 v34, v22, v35
	s_delay_alu instid0(VALU_DEP_4) | instskip(SKIP_1) | instid1(VALU_DEP_4)
	v_fmac_f32_e32 v8, -0.5, v10
	v_sub_f32_e32 v22, v35, v22
	v_dual_add_f32 v6, v6, v41 :: v_dual_fmac_f32 v47, 0x3f737871, v111
	s_delay_alu instid0(VALU_DEP_4) | instskip(NEXT) | instid1(VALU_DEP_4)
	v_add_f32_e32 v10, v34, v40
	v_fmamk_f32 v34, v23, 0xbf737871, v8
	v_dual_sub_f32 v35, v39, v41 :: v_dual_fmac_f32 v8, 0x3f737871, v23
	v_sub_f32_e32 v38, v71, v50
                                        ; implicit-def: $vgpr49
	s_delay_alu instid0(VALU_DEP_2) | instskip(NEXT) | instid1(VALU_DEP_4)
	v_add_f32_e32 v12, v22, v35
	v_dual_add_f32 v19, v7, v47 :: v_dual_fmac_f32 v34, 0x3f167918, v21
	v_sub_f32_e32 v47, v7, v47
	v_fmamk_f32 v7, v21, 0x3f737871, v17
	v_fmac_f32_e32 v8, 0xbf167918, v21
	s_delay_alu instid0(VALU_DEP_4) | instskip(SKIP_1) | instid1(VALU_DEP_4)
	v_fmac_f32_e32 v34, 0x3e9e377a, v12
	v_fmac_f32_e32 v17, 0xbf737871, v21
	v_fmac_f32_e32 v7, 0x3f167918, v23
	s_delay_alu instid0(VALU_DEP_4) | instskip(SKIP_1) | instid1(VALU_DEP_1)
	v_fmac_f32_e32 v8, 0x3e9e377a, v12
	v_mul_f32_e32 v12, 0x3f4f1bbd, v54
	v_fma_f32 v21, 0x3f167918, v52, -v12
	s_delay_alu instid0(VALU_DEP_4) | instskip(SKIP_1) | instid1(VALU_DEP_1)
	v_fmac_f32_e32 v7, 0x3e9e377a, v10
	v_dual_add_f32 v12, v34, v18 :: v_dual_fmac_f32 v17, 0xbf167918, v23
	v_dual_fmac_f32 v17, 0x3e9e377a, v10 :: v_dual_mul_f32 v10, 0x3e9e377a, v13
	s_delay_alu instid0(VALU_DEP_1) | instskip(SKIP_1) | instid1(VALU_DEP_3)
	v_fma_f32 v16, 0x3f737871, v4, -v10
	v_add_f32_e32 v10, v6, v5
	v_dual_add_f32 v4, v17, v21 :: v_dual_add_f32 v11, v7, v14
	v_sub_f32_e32 v5, v6, v5
	s_delay_alu instid0(VALU_DEP_4)
	v_dual_add_f32 v13, v8, v16 :: v_dual_sub_f32 v6, v7, v14
	v_dual_sub_f32 v7, v34, v18 :: v_dual_sub_f32 v34, v8, v16
	v_sub_f32_e32 v35, v17, v21
	ds_store_2addr_b64 v36, v[59:60], v[61:62] offset1:1
	ds_store_2addr_b64 v36, v[63:64], v[69:70] offset0:2 offset1:3
	ds_store_b64 v36, v[105:106] offset:32
	ds_store_2addr_b64 v48, v[42:43], v[19:20] offset1:1
	ds_store_2addr_b64 v48, v[44:45], v[46:47] offset0:2 offset1:3
	ds_store_b64 v48, v[37:38] offset:32
	;; [unrolled: 3-line block ×3, first 2 shown]
	global_wb scope:SCOPE_SE
	s_wait_dscnt 0x0
	s_barrier_signal -1
	s_barrier_wait -1
	global_inv scope:SCOPE_SE
	ds_load_b32 v58, v66
	ds_load_2addr_b32 v[56:57], v68 offset0:60 offset1:76
	ds_load_2addr_b32 v[52:53], v68 offset0:92 offset1:120
	;; [unrolled: 1-line block ×8, first 2 shown]
	ds_load_2addr_b32 v[36:37], v15 offset1:16
	ds_load_2addr_b32 v[44:45], v15 offset0:120 offset1:136
	ds_load_b32 v59, v74
	ds_load_b32 v60, v72
	ds_load_b32 v61, v68 offset:1808
                                        ; implicit-def: $vgpr62
	s_and_saveexec_b32 s1, s0
	s_cbranch_execz .LBB0_17
; %bb.16:
	v_add_nc_u32_e32 v4, 0x200, v68
	ds_load_2addr_b32 v[7:8], v4 offset0:100 offset1:160
	v_add_nc_u32_e32 v5, 0x400, v68
	v_add3_u32 v4, 0, v99, v98
	s_wait_dscnt 0x0
	v_mov_b32_e32 v34, v8
	ds_load_2addr_b32 v[48:49], v5 offset0:92 offset1:152
	ds_load_2addr_b32 v[5:6], v68 offset0:108 offset1:168
	ds_load_b32 v4, v4
	ds_load_b32 v62, v68 offset:1872
	s_wait_dscnt 0x3
	v_mov_b32_e32 v35, v48
.LBB0_17:
	s_wait_alu 0xfffe
	s_or_b32 exec_lo, exec_lo, s1
	v_dual_mov_b32 v9, 0 :: v_dual_add_nc_u32 v8, -10, v94
	v_cmp_gt_u32_e64 s1, 10, v94
	s_wait_alu 0xf1ff
	s_delay_alu instid0(VALU_DEP_1) | instskip(NEXT) | instid1(VALU_DEP_1)
	v_cndmask_b32_e64 v63, v8, v94, s1
	v_mul_i32_i24_e32 v8, 7, v63
	s_delay_alu instid0(VALU_DEP_1) | instskip(NEXT) | instid1(VALU_DEP_1)
	v_lshlrev_b64_e32 v[8:9], 3, v[8:9]
	v_add_co_u32 v8, s1, s8, v8
	s_wait_alu 0xf1ff
	s_delay_alu instid0(VALU_DEP_2)
	v_add_co_ci_u32_e64 v9, s1, s9, v9, s1
	v_cmp_lt_u32_e64 s1, 9, v94
	s_clause 0x3
	global_load_b128 v[105:108], v[8:9], off
	global_load_b128 v[109:112], v[8:9], off offset:32
	global_load_b64 v[69:70], v[8:9], off offset:48
	global_load_b128 v[12:15], v[8:9], off offset:16
	v_and_b32_e32 v10, 0xff, v95
	v_and_b32_e32 v11, 0xff, v96
	s_delay_alu instid0(VALU_DEP_2) | instskip(NEXT) | instid1(VALU_DEP_2)
	v_mul_lo_u16 v10, 0xcd, v10
	v_mul_lo_u16 v11, 0xcd, v11
	s_delay_alu instid0(VALU_DEP_2) | instskip(NEXT) | instid1(VALU_DEP_2)
	v_lshrrev_b16 v64, 11, v10
	v_lshrrev_b16 v65, 11, v11
	s_delay_alu instid0(VALU_DEP_2) | instskip(NEXT) | instid1(VALU_DEP_2)
	v_mul_lo_u16 v10, v64, 10
	v_mul_lo_u16 v8, v65, 10
	;; [unrolled: 1-line block ×3, first 2 shown]
	v_and_b32_e32 v65, 0xffff, v65
	s_delay_alu instid0(VALU_DEP_4) | instskip(NEXT) | instid1(VALU_DEP_4)
	v_sub_nc_u16 v67, v95, v10
	v_sub_nc_u16 v8, v96, v8
	s_delay_alu instid0(VALU_DEP_3) | instskip(NEXT) | instid1(VALU_DEP_3)
	v_mul_u32_u24_e32 v65, 0x50, v65
	v_mul_lo_u16 v9, v67, 7
	s_delay_alu instid0(VALU_DEP_3) | instskip(SKIP_1) | instid1(VALU_DEP_3)
	v_and_b32_e32 v71, 0xff, v8
	v_or_b32_e32 v64, v64, v67
	v_and_b32_e32 v8, 0xff, v9
	v_and_b32_e32 v9, 0xff, v97
	s_delay_alu instid0(VALU_DEP_4) | instskip(NEXT) | instid1(VALU_DEP_3)
	v_mul_u32_u24_e32 v10, 7, v71
	v_lshlrev_b32_e32 v8, 3, v8
	s_delay_alu instid0(VALU_DEP_2)
	v_lshlrev_b32_e32 v10, 3, v10
	s_wait_loadcnt 0x3
	v_mul_f32_e32 v82, v89, v108
	v_mul_lo_u16 v9, 0xcd, v9
	s_wait_loadcnt_dscnt 0x106
	v_mul_f32_e32 v143, v46, v70
	s_clause 0x3
	global_load_b128 v[113:116], v8, s[8:9]
	global_load_b128 v[117:120], v10, s[8:9]
	global_load_b128 v[20:23], v8, s[8:9] offset:16
	global_load_b128 v[121:124], v8, s[8:9] offset:32
	v_lshrrev_b16 v73, 11, v9
	s_clause 0x2
	global_load_b64 v[137:138], v8, s[8:9] offset:48
	global_load_b128 v[16:19], v10, s[8:9] offset:16
	global_load_b128 v[125:128], v10, s[8:9] offset:32
	v_mul_f32_e32 v70, v84, v70
	s_wait_loadcnt 0x7
	v_mul_f32_e32 v144, v39, v15
	v_mul_lo_u16 v9, v73, 10
	s_delay_alu instid0(VALU_DEP_3) | instskip(SKIP_1) | instid1(VALU_DEP_3)
	v_fma_f32 v46, v46, v69, -v70
	v_fmac_f32_e32 v143, v84, v69
	v_sub_nc_u16 v9, v97, v9
	v_fmac_f32_e32 v144, v31, v14
	s_delay_alu instid0(VALU_DEP_1) | instskip(NEXT) | instid1(VALU_DEP_1)
	v_dual_sub_f32 v69, v103, v144 :: v_dual_and_b32 v48, 0xff, v9
	v_mul_u32_u24_e32 v8, 7, v48
	s_delay_alu instid0(VALU_DEP_1)
	v_lshlrev_b32_e32 v75, 3, v8
	s_clause 0x4
	global_load_b64 v[139:140], v10, s[8:9] offset:48
	global_load_b128 v[129:132], v75, s[8:9]
	global_load_b128 v[8:11], v75, s[8:9] offset:16
	global_load_b128 v[133:136], v75, s[8:9] offset:32
	global_load_b64 v[141:142], v75, s[8:9] offset:48
	s_wait_alu 0xf1ff
	v_cndmask_b32_e64 v75, 0, 0x50, s1
	global_wb scope:SCOPE_SE
	s_wait_loadcnt_dscnt 0x0
	s_barrier_signal -1
	s_barrier_wait -1
	global_inv scope:SCOPE_SE
	v_or_b32_e32 v63, v75, v63
	v_and_b32_e32 v75, 0xff, v64
	s_delay_alu instid0(VALU_DEP_2) | instskip(SKIP_2) | instid1(VALU_DEP_3)
	v_lshlrev_b32_e32 v67, 2, v63
	v_and_b32_e32 v63, 0xffff, v73
	v_mul_f32_e32 v73, v92, v106
	v_add3_u32 v64, 0, v67, v98
	v_lshlrev_b32_e32 v67, 2, v75
	v_dual_mul_f32 v75, v53, v108 :: v_dual_mul_f32 v108, v86, v110
	v_or_b32_e32 v65, v65, v71
	v_fma_f32 v53, v53, v107, -v82
	s_delay_alu instid0(VALU_DEP_3) | instskip(NEXT) | instid1(VALU_DEP_3)
	v_fmac_f32_e32 v75, v89, v107
	v_lshlrev_b32_e32 v71, 2, v65
	v_add3_u32 v65, 0, v67, v98
	s_delay_alu instid0(VALU_DEP_2)
	v_add3_u32 v67, 0, v71, v98
	v_mul_f32_e32 v71, v56, v106
	v_mul_f32_e32 v106, v50, v110
	;; [unrolled: 1-line block ×4, first 2 shown]
	v_fma_f32 v56, v56, v105, -v73
	v_fma_f32 v50, v50, v109, -v108
	v_mul_f32_e32 v73, v42, v13
	v_fmac_f32_e32 v106, v86, v109
	v_dual_fmac_f32 v110, v77, v111 :: v_dual_fmac_f32 v71, v92, v105
	v_fma_f32 v41, v41, v111, -v112
	v_sub_f32_e32 v50, v56, v50
	v_fmac_f32_e32 v73, v80, v12
	v_mul_f32_e32 v13, v80, v13
	v_mul_f32_e32 v86, v52, v118
	;; [unrolled: 1-line block ×4, first 2 shown]
	v_sub_f32_e32 v70, v73, v143
	v_fma_f32 v42, v42, v12, -v13
	v_dual_sub_f32 v12, v75, v110 :: v_dual_sub_f32 v13, v53, v41
	v_dual_mul_f32 v82, v54, v116 :: v_dual_sub_f32 v41, v71, v106
	v_dual_mul_f32 v84, v90, v116 :: v_dual_mul_f32 v89, v43, v21
	v_dual_mul_f32 v92, v81, v21 :: v_dual_mul_f32 v105, v88, v118
	v_dual_mul_f32 v106, v55, v120 :: v_dual_fmac_f32 v77, v93, v113
	v_mul_f32_e32 v93, v36, v23
	v_fma_f32 v57, v57, v113, -v80
	v_mul_f32_e32 v80, v51, v122
	v_dual_mul_f32 v107, v91, v120 :: v_dual_fmac_f32 v86, v88, v117
	v_fmac_f32_e32 v82, v90, v115
	v_fma_f32 v21, v54, v115, -v84
	v_mul_f32_e32 v84, v87, v122
	v_dual_mul_f32 v90, v44, v124 :: v_dual_mul_f32 v109, v47, v138
	v_dual_mul_f32 v108, v78, v124 :: v_dual_mul_f32 v111, v37, v19
	v_sub_f32_e32 v46, v42, v46
	v_mul_f32_e32 v88, v85, v138
	v_mul_f32_e32 v110, v38, v17
	v_fma_f32 v52, v52, v117, -v105
	v_dual_mul_f32 v105, v30, v17 :: v_dual_fmac_f32 v106, v91, v119
	v_mul_f32_e32 v91, v40, v126
	v_mul_f32_e32 v112, v76, v126
	v_fma_f32 v17, v55, v119, -v107
	v_mul_f32_e32 v55, v79, v128
	v_mul_f32_e32 v107, v45, v128
	v_dual_mul_f32 v113, v61, v140 :: v_dual_fmac_f32 v80, v87, v121
	v_dual_mul_f32 v114, v102, v140 :: v_dual_mul_f32 v115, v5, v130
	v_dual_mul_f32 v116, v1, v130 :: v_dual_mul_f32 v87, v2, v132
	;; [unrolled: 1-line block ×3, first 2 shown]
	v_fma_f32 v51, v51, v121, -v84
	v_mul_f32_e32 v84, v7, v9
	v_dual_fmac_f32 v90, v78, v123 :: v_dual_mul_f32 v119, v83, v136
	v_fma_f32 v44, v44, v123, -v108
	v_dual_mul_f32 v78, v35, v134 :: v_dual_fmac_f32 v109, v85, v137
	v_dual_mul_f32 v108, v29, v134 :: v_dual_fmac_f32 v91, v76, v125
	v_mul_f32_e32 v120, v104, v142
	v_fma_f32 v9, v56, 2.0, -v50
	v_fma_f32 v56, v73, 2.0, -v70
	v_dual_add_f32 v73, v69, v13 :: v_dual_sub_f32 v70, v50, v70
	v_fmac_f32_e32 v89, v81, v20
	v_dual_mul_f32 v118, v49, v136 :: v_dual_fmac_f32 v93, v32, v22
	v_mul_f32_e32 v85, v62, v142
	v_fma_f32 v103, v103, 2.0, -v69
	v_fma_f32 v75, v75, 2.0, -v12
	;; [unrolled: 1-line block ×4, first 2 shown]
	v_fma_f32 v47, v47, v137, -v88
	v_dual_add_f32 v46, v41, v46 :: v_dual_fmac_f32 v107, v79, v127
	v_fma_f32 v81, v43, v20, -v92
	v_dual_fmac_f32 v110, v30, v16 :: v_dual_fmac_f32 v111, v33, v18
	v_fma_f32 v30, v38, v16, -v105
	v_fma_f32 v16, v40, v125, -v112
	;; [unrolled: 1-line block ×3, first 2 shown]
	v_dual_fmac_f32 v113, v102, v139 :: v_dual_fmac_f32 v84, v3, v8
	v_fma_f32 v40, v61, v139, -v114
	v_dual_fmac_f32 v115, v1, v129 :: v_dual_fmac_f32 v54, v2, v131
	v_fma_f32 v1, v6, v131, -v87
	v_fma_f32 v76, v7, v8, -v117
	;; [unrolled: 1-line block ×4, first 2 shown]
	v_fma_f32 v62, v69, 2.0, -v73
	v_dual_mul_f32 v6, 0x3f3504f3, v70 :: v_dual_sub_f32 v69, v77, v80
	v_dual_sub_f32 v38, v21, v44 :: v_dual_sub_f32 v79, v100, v111
	v_dual_sub_f32 v51, v57, v51 :: v_dual_sub_f32 v40, v30, v40
	;; [unrolled: 1-line block ×3, first 2 shown]
	v_fma_f32 v45, v5, v129, -v116
	v_fmac_f32_e32 v78, v29, v133
	v_dual_fmac_f32 v118, v83, v135 :: v_dual_fmac_f32 v85, v104, v141
	v_fma_f32 v29, v49, v135, -v119
	v_sub_f32_e32 v49, v103, v75
	v_dual_sub_f32 v2, v71, v56 :: v_dual_sub_f32 v55, v9, v42
	v_fma_f32 v41, v41, 2.0, -v46
	v_dual_mul_f32 v5, 0x3f3504f3, v46 :: v_dual_fmamk_f32 v46, v46, 0x3f3504f3, v73
	v_dual_sub_f32 v56, v101, v93 :: v_dual_sub_f32 v7, v82, v90
	v_dual_sub_f32 v47, v81, v47 :: v_dual_sub_f32 v42, v54, v118
	v_fma_f32 v50, v50, 2.0, -v70
	v_dual_sub_f32 v20, v17, v20 :: v_dual_sub_f32 v75, v110, v113
	v_dual_sub_f32 v80, v86, v91 :: v_dual_sub_f32 v83, v52, v16
	v_fma_f32 v77, v77, 2.0, -v69
	v_fma_f32 v61, v57, 2.0, -v51
	;; [unrolled: 1-line block ×3, first 2 shown]
	v_dual_sub_f32 v43, v1, v29 :: v_dual_sub_f32 v78, v115, v78
	v_dual_sub_f32 v87, v45, v8 :: v_dual_mul_f32 v8, 0x3f3504f3, v41
	v_dual_sub_f32 v85, v84, v85 :: v_dual_fmamk_f32 v90, v41, 0xbf3504f3, v62
	v_dual_sub_f32 v35, v76, v35 :: v_dual_fmac_f32 v46, 0x3f3504f3, v70
	v_fma_f32 v88, v103, 2.0, -v49
	v_fma_f32 v71, v71, 2.0, -v2
	;; [unrolled: 1-line block ×5, first 2 shown]
	v_add_f32_e32 v89, v56, v38
	v_add_f32_e32 v47, v69, v47
	v_dual_mul_f32 v29, 0x3f3504f3, v50 :: v_dual_add_f32 v102, v80, v40
	v_sub_f32_e32 v91, v51, v44
	v_fma_f32 v92, v100, 2.0, -v79
	v_fma_f32 v93, v106, 2.0, -v3
	;; [unrolled: 1-line block ×6, first 2 shown]
	v_dual_sub_f32 v40, v77, v57 :: v_dual_add_f32 v101, v79, v20
	v_dual_add_f32 v41, v49, v55 :: v_dual_fmac_f32 v90, 0x3f3504f3, v50
	s_delay_alu instid0(VALU_DEP_4)
	v_dual_sub_f32 v103, v83, v75 :: v_dual_sub_f32 v30, v86, v52
	v_fma_f32 v44, v45, 2.0, -v87
	v_fma_f32 v45, v84, 2.0, -v85
	v_fma_f32 v76, v76, 2.0, -v35
	v_dual_add_f32 v84, v78, v35 :: v_dual_sub_f32 v85, v87, v85
	v_mul_f32_e32 v52, 0x3f3504f3, v103
	v_dual_sub_f32 v82, v70, v82 :: v_dual_sub_f32 v71, v88, v71
	v_fmamk_f32 v106, v47, 0x3f3504f3, v89
	v_fma_f32 v105, v56, 2.0, -v89
	v_fma_f32 v69, v69, 2.0, -v47
	;; [unrolled: 1-line block ×3, first 2 shown]
	v_sub_f32_e32 v73, v61, v81
	v_fma_f32 v81, v51, 2.0, -v91
	v_dual_mul_f32 v56, 0x3f3504f3, v91 :: v_dual_sub_f32 v93, v92, v93
	v_fma_f32 v79, v79, 2.0, -v101
	v_fma_f32 v51, v80, 2.0, -v102
	;; [unrolled: 1-line block ×4, first 2 shown]
	ds_store_2addr_b32 v64, v41, v46 offset0:60 offset1:70
	v_mul_f32_e32 v41, 0x3f3504f3, v47
	v_fma_f32 v80, v83, 2.0, -v103
	v_fmamk_f32 v83, v102, 0x3f3504f3, v101
	v_sub_f32_e32 v47, v44, v76
	v_fma_f32 v76, v78, 2.0, -v84
	v_fma_f32 v78, v87, 2.0, -v85
	v_mul_f32_e32 v46, 0x3f3504f3, v84
	v_fma_f32 v84, v88, 2.0, -v71
	v_fma_f32 v87, v70, 2.0, -v82
	;; [unrolled: 1-line block ×3, first 2 shown]
	v_fmamk_f32 v88, v69, 0xbf3504f3, v105
	v_dual_mul_f32 v35, 0x3f3504f3, v102 :: v_dual_fmac_f32 v106, 0x3f3504f3, v91
	v_fma_f32 v91, v92, 2.0, -v93
	v_fma_f32 v86, v86, 2.0, -v30
	v_dual_fmamk_f32 v92, v51, 0xbf3504f3, v79 :: v_dual_sub_f32 v57, v16, v100
	v_mul_f32_e32 v49, 0x3f3504f3, v85
	v_fma_f32 v85, v62, 2.0, -v90
	ds_store_2addr_b32 v64, v50, v104 offset0:20 offset1:30
	ds_store_2addr_b32 v64, v71, v90 offset0:40 offset1:50
	v_fmac_f32_e32 v92, 0x3f3504f3, v80
	v_add_f32_e32 v90, v82, v73
	v_dual_sub_f32 v45, v75, v45 :: v_dual_mul_f32 v50, 0x3f3504f3, v76
	v_mul_f32_e32 v62, 0x3f3504f3, v51
	v_dual_fmac_f32 v83, 0x3f3504f3, v103 :: v_dual_sub_f32 v76, v87, v77
	v_dual_mul_f32 v51, 0x3f3504f3, v78 :: v_dual_fmac_f32 v88, 0x3f3504f3, v81
	v_mul_f32_e32 v71, 0x3f3504f3, v81
	v_dual_sub_f32 v81, v91, v86 :: v_dual_mul_f32 v70, 0x3f3504f3, v69
	v_dual_mul_f32 v69, 0x3f3504f3, v80 :: v_dual_add_f32 v100, v93, v57
	v_fma_f32 v77, v82, 2.0, -v90
	v_fma_f32 v78, v89, 2.0, -v106
	ds_store_2addr_b32 v64, v84, v85 offset1:10
	v_fma_f32 v84, v87, 2.0, -v76
	v_fma_f32 v85, v105, 2.0, -v88
	;; [unrolled: 1-line block ×6, first 2 shown]
	ds_store_2addr_b32 v65, v90, v106 offset0:60 offset1:70
	ds_store_2addr_b32 v65, v77, v78 offset0:20 offset1:30
	;; [unrolled: 1-line block ×3, first 2 shown]
	ds_store_2addr_b32 v65, v84, v85 offset1:10
	ds_store_2addr_b32 v67, v86, v79 offset1:10
	ds_store_2addr_b32 v67, v80, v82 offset0:20 offset1:30
	ds_store_2addr_b32 v67, v81, v92 offset0:40 offset1:50
	;; [unrolled: 1-line block ×3, first 2 shown]
	s_and_saveexec_b32 s1, s0
	s_cbranch_execz .LBB0_19
; %bb.18:
	v_mul_f32_e32 v76, v34, v11
	v_fma_f32 v54, v54, 2.0, -v42
	v_mul_u32_u24_e32 v78, 0x50, v63
	v_fma_f32 v75, v75, 2.0, -v45
	s_delay_alu instid0(VALU_DEP_4) | instskip(NEXT) | instid1(VALU_DEP_3)
	v_fmac_f32_e32 v76, v28, v10
	v_or_b32_e32 v78, v78, v48
	s_delay_alu instid0(VALU_DEP_2) | instskip(NEXT) | instid1(VALU_DEP_2)
	v_sub_f32_e32 v76, v0, v76
	v_lshlrev_b32_e32 v78, 2, v78
	s_delay_alu instid0(VALU_DEP_2) | instskip(NEXT) | instid1(VALU_DEP_2)
	v_fma_f32 v0, v0, 2.0, -v76
	v_add3_u32 v78, 0, v78, v98
	s_delay_alu instid0(VALU_DEP_2) | instskip(NEXT) | instid1(VALU_DEP_1)
	v_sub_f32_e32 v54, v0, v54
	v_add_f32_e32 v81, v54, v47
	v_add_f32_e32 v77, v76, v43
	v_fma_f32 v0, v0, 2.0, -v54
	s_delay_alu instid0(VALU_DEP_3) | instskip(NEXT) | instid1(VALU_DEP_3)
	v_fma_f32 v54, v54, 2.0, -v81
	v_fma_f32 v76, v76, 2.0, -v77
	v_add_f32_e32 v79, v77, v46
	s_delay_alu instid0(VALU_DEP_4) | instskip(NEXT) | instid1(VALU_DEP_2)
	v_sub_f32_e32 v75, v0, v75
	v_dual_sub_f32 v80, v76, v50 :: v_dual_add_f32 v79, v49, v79
	s_delay_alu instid0(VALU_DEP_2) | instskip(NEXT) | instid1(VALU_DEP_2)
	v_fma_f32 v0, v0, 2.0, -v75
	v_add_f32_e32 v80, v51, v80
	s_delay_alu instid0(VALU_DEP_3) | instskip(NEXT) | instid1(VALU_DEP_2)
	v_fma_f32 v77, v77, 2.0, -v79
	v_fma_f32 v76, v76, 2.0, -v80
	ds_store_2addr_b32 v78, v54, v77 offset0:20 offset1:30
	ds_store_2addr_b32 v78, v75, v80 offset0:40 offset1:50
	ds_store_2addr_b32 v78, v0, v76 offset1:10
	ds_store_2addr_b32 v78, v81, v79 offset0:60 offset1:70
.LBB0_19:
	s_wait_alu 0xfffe
	s_or_b32 exec_lo, exec_lo, s1
	v_fma_f32 v13, v53, 2.0, -v13
	v_mul_f32_e32 v0, v31, v15
	v_fma_f32 v17, v17, 2.0, -v20
	v_fma_f32 v9, v9, 2.0, -v55
	global_wb scope:SCOPE_SE
	s_wait_dscnt 0x0
	s_barrier_signal -1
	v_fma_f32 v0, v39, v14, -v0
	v_mul_f32_e32 v15, v32, v23
	s_barrier_wait -1
	global_inv scope:SCOPE_SE
	v_sub_f32_e32 v0, v58, v0
	v_fma_f32 v14, v36, v22, -v15
	v_mul_f32_e32 v19, v33, v19
	v_fma_f32 v15, v21, 2.0, -v38
	s_delay_alu instid0(VALU_DEP_4) | instskip(NEXT) | instid1(VALU_DEP_4)
	v_fma_f32 v20, v58, 2.0, -v0
	v_sub_f32_e32 v14, v60, v14
	s_delay_alu instid0(VALU_DEP_4) | instskip(SKIP_1) | instid1(VALU_DEP_4)
	v_fma_f32 v18, v37, v18, -v19
	v_fma_f32 v19, v61, 2.0, -v73
	v_sub_f32_e32 v13, v20, v13
	s_delay_alu instid0(VALU_DEP_4) | instskip(NEXT) | instid1(VALU_DEP_4)
	v_fma_f32 v21, v60, 2.0, -v14
	v_dual_sub_f32 v18, v59, v18 :: v_dual_sub_f32 v7, v14, v7
	v_sub_f32_e32 v12, v0, v12
	s_delay_alu instid0(VALU_DEP_4) | instskip(NEXT) | instid1(VALU_DEP_4)
	v_fma_f32 v20, v20, 2.0, -v13
	v_sub_f32_e32 v15, v21, v15
	s_delay_alu instid0(VALU_DEP_4)
	v_fma_f32 v22, v59, 2.0, -v18
	v_fma_f32 v14, v14, 2.0, -v7
	;; [unrolled: 1-line block ×3, first 2 shown]
	v_add_f32_e32 v6, v12, v6
	v_sub_f32_e32 v53, v13, v2
	v_fma_f32 v2, v21, 2.0, -v15
	s_delay_alu instid0(VALU_DEP_4) | instskip(NEXT) | instid1(VALU_DEP_4)
	v_dual_sub_f32 v76, v18, v3 :: v_dual_sub_f32 v23, v0, v29
	v_sub_f32_e32 v54, v6, v5
	v_sub_f32_e32 v5, v14, v71
	s_delay_alu instid0(VALU_DEP_4) | instskip(SKIP_2) | instid1(VALU_DEP_4)
	v_sub_f32_e32 v60, v2, v19
	v_sub_f32_e32 v73, v22, v17
	v_dual_sub_f32 v55, v20, v9 :: v_dual_sub_f32 v58, v23, v8
	v_sub_f32_e32 v70, v5, v70
	s_delay_alu instid0(VALU_DEP_4) | instskip(NEXT) | instid1(VALU_DEP_4)
	v_fma_f32 v75, v2, 2.0, -v60
	v_dual_add_f32 v2, v7, v56 :: v_dual_sub_f32 v81, v73, v30
	v_fma_f32 v3, v22, 2.0, -v73
	v_fma_f32 v5, v16, 2.0, -v57
	v_sub_f32_e32 v57, v15, v40
	v_fma_f32 v56, v18, 2.0, -v76
	v_sub_f32_e32 v78, v2, v41
	v_add_nc_u32_e32 v22, 0x400, v68
	v_fma_f32 v59, v13, 2.0, -v53
	v_fma_f32 v71, v12, 2.0, -v54
	v_sub_f32_e32 v2, v56, v69
	v_sub_f32_e32 v79, v3, v5
	v_add_f32_e32 v5, v76, v52
	v_fma_f32 v77, v14, 2.0, -v70
	v_fma_f32 v69, v15, 2.0, -v57
	v_sub_f32_e32 v62, v2, v62
	v_fma_f32 v52, v7, 2.0, -v78
	v_fma_f32 v80, v3, 2.0, -v79
	v_sub_f32_e32 v82, v5, v35
	ds_load_2addr_b32 v[7:8], v68 offset0:64 offset1:80
	ds_load_2addr_b32 v[2:3], v68 offset0:160 offset1:176
	;; [unrolled: 1-line block ×6, first 2 shown]
	ds_load_2addr_b32 v[14:15], v22 offset1:16
	ds_load_2addr_b32 v[16:17], v22 offset0:160 offset1:176
	ds_load_2addr_b32 v[18:19], v68 offset0:192 offset1:208
	v_add3_u32 v41, 0, v99, v98
	v_fma_f32 v61, v20, 2.0, -v55
	ds_load_2addr_b32 v[20:21], v22 offset0:96 offset1:112
	ds_load_b32 v33, v66
	ds_load_b32 v39, v72
	;; [unrolled: 1-line block ×4, first 2 shown]
	ds_load_2addr_b32 v[35:36], v68 offset0:128 offset1:144
	ds_load_2addr_b32 v[37:38], v22 offset0:32 offset1:48
	;; [unrolled: 1-line block ×3, first 2 shown]
	v_fma_f32 v0, v0, 2.0, -v58
	v_fma_f32 v56, v56, 2.0, -v62
	;; [unrolled: 1-line block ×4, first 2 shown]
	global_wb scope:SCOPE_SE
	s_wait_dscnt 0x0
	s_barrier_signal -1
	s_barrier_wait -1
	global_inv scope:SCOPE_SE
	ds_store_2addr_b32 v64, v61, v0 offset1:10
	ds_store_2addr_b32 v64, v59, v71 offset0:20 offset1:30
	ds_store_2addr_b32 v64, v55, v58 offset0:40 offset1:50
	ds_store_2addr_b32 v64, v53, v54 offset0:60 offset1:70
	ds_store_2addr_b32 v65, v75, v77 offset1:10
	ds_store_2addr_b32 v65, v69, v52 offset0:20 offset1:30
	ds_store_2addr_b32 v65, v60, v70 offset0:40 offset1:50
	ds_store_2addr_b32 v65, v57, v78 offset0:60 offset1:70
	;; [unrolled: 4-line block ×3, first 2 shown]
	s_and_saveexec_b32 s1, s0
	s_cbranch_execz .LBB0_21
; %bb.20:
	v_mul_f32_e32 v0, v28, v11
	v_mul_u32_u24_e32 v11, 0x50, v63
	v_fma_f32 v1, v1, 2.0, -v43
	v_fma_f32 v28, v44, 2.0, -v47
	s_delay_alu instid0(VALU_DEP_4) | instskip(NEXT) | instid1(VALU_DEP_4)
	v_fma_f32 v0, v34, v10, -v0
	v_or_b32_e32 v11, v11, v48
	s_delay_alu instid0(VALU_DEP_1) | instskip(NEXT) | instid1(VALU_DEP_1)
	v_dual_sub_f32 v0, v4, v0 :: v_dual_lshlrev_b32 v11, 2, v11
	v_fma_f32 v4, v4, 2.0, -v0
	v_sub_f32_e32 v10, v0, v42
	s_delay_alu instid0(VALU_DEP_3) | instskip(NEXT) | instid1(VALU_DEP_2)
	v_add3_u32 v11, 0, v11, v98
	v_fma_f32 v0, v0, 2.0, -v10
	v_add_f32_e32 v34, v10, v49
	v_sub_f32_e32 v1, v4, v1
	s_delay_alu instid0(VALU_DEP_3) | instskip(NEXT) | instid1(VALU_DEP_3)
	v_sub_f32_e32 v42, v0, v51
	v_sub_f32_e32 v34, v34, v46
	s_delay_alu instid0(VALU_DEP_3) | instskip(NEXT) | instid1(VALU_DEP_3)
	v_fma_f32 v4, v4, 2.0, -v1
	v_dual_sub_f32 v43, v1, v45 :: v_dual_sub_f32 v42, v42, v50
	s_delay_alu instid0(VALU_DEP_3) | instskip(NEXT) | instid1(VALU_DEP_3)
	v_fma_f32 v10, v10, 2.0, -v34
	v_sub_f32_e32 v28, v4, v28
	s_delay_alu instid0(VALU_DEP_3) | instskip(NEXT) | instid1(VALU_DEP_4)
	v_fma_f32 v1, v1, 2.0, -v43
	v_fma_f32 v0, v0, 2.0, -v42
	s_delay_alu instid0(VALU_DEP_3)
	v_fma_f32 v4, v4, 2.0, -v28
	ds_store_2addr_b32 v11, v1, v10 offset0:20 offset1:30
	ds_store_2addr_b32 v11, v28, v42 offset0:40 offset1:50
	ds_store_2addr_b32 v11, v4, v0 offset1:10
	ds_store_2addr_b32 v11, v43, v34 offset0:60 offset1:70
.LBB0_21:
	s_wait_alu 0xfffe
	s_or_b32 exec_lo, exec_lo, s1
	global_wb scope:SCOPE_SE
	s_wait_dscnt 0x0
	s_barrier_signal -1
	s_barrier_wait -1
	global_inv scope:SCOPE_SE
	s_and_saveexec_b32 s0, vcc_lo
	s_cbranch_execz .LBB0_23
; %bb.22:
	v_mul_u32_u24_e32 v0, 5, v94
	v_or_b32_e32 v1, 64, v94
	v_mul_lo_u32 v28, s2, v27
	v_lshlrev_b64_e32 v[24:25], 3, v[24:25]
	s_delay_alu instid0(VALU_DEP_4) | instskip(NEXT) | instid1(VALU_DEP_4)
	v_lshlrev_b32_e32 v0, 3, v0
	v_mul_u32_u24_e32 v1, 5, v1
	s_delay_alu instid0(VALU_DEP_1)
	v_dual_mov_b32 v1, 0 :: v_dual_lshlrev_b32 v4, 3, v1
	s_clause 0x1
	global_load_b128 v[42:45], v0, s[8:9] offset:560
	global_load_b128 v[46:49], v0, s[8:9] offset:576
	s_wait_loadcnt 0x1
	v_mul_f32_e32 v121, v8, v42
	s_clause 0x2
	global_load_b64 v[10:11], v0, s[8:9] offset:592
	global_load_b128 v[50:53], v4, s[8:9] offset:576
	global_load_b128 v[54:57], v4, s[8:9] offset:560
	v_mul_i32_i24_e32 v0, 5, v97
	global_load_b64 v[69:70], v4, s[8:9] offset:592
	v_add_nc_u32_e32 v4, 0x400, v68
	s_wait_loadcnt 0x4
	v_mul_f32_e32 v122, v30, v46
	v_lshlrev_b64_e32 v[58:59], 3, v[0:1]
	v_mul_i32_i24_e32 v0, 5, v96
	s_delay_alu instid0(VALU_DEP_2) | instskip(SKIP_1) | instid1(VALU_DEP_3)
	v_add_co_u32 v75, vcc_lo, s8, v58
	s_wait_alu 0xfffd
	v_add_co_ci_u32_e32 v76, vcc_lo, s9, v59, vcc_lo
	s_clause 0x2
	global_load_b128 v[58:61], v[75:76], off offset:560
	global_load_b128 v[62:65], v[75:76], off offset:576
	global_load_b64 v[91:92], v[75:76], off offset:592
	v_lshlrev_b64_e32 v[75:76], 3, v[0:1]
	v_mul_i32_i24_e32 v0, 5, v95
	s_delay_alu instid0(VALU_DEP_2) | instskip(SKIP_1) | instid1(VALU_DEP_3)
	v_add_co_u32 v83, vcc_lo, s8, v75
	s_wait_alu 0xfffd
	v_add_co_ci_u32_e32 v84, vcc_lo, s9, v76, vcc_lo
	s_clause 0x2
	global_load_b128 v[75:78], v[83:84], off offset:560
	global_load_b128 v[79:82], v[83:84], off offset:576
	global_load_b64 v[96:97], v[83:84], off offset:592
	v_lshlrev_b64_e32 v[83:84], 3, v[0:1]
	v_mul_lo_u32 v0, s3, v26
	v_mad_co_u64_u32 v[26:27], null, s2, v26, 0
	s_delay_alu instid0(VALU_DEP_3) | instskip(SKIP_1) | instid1(VALU_DEP_4)
	v_add_co_u32 v98, vcc_lo, s8, v83
	s_wait_alu 0xfffd
	v_add_co_ci_u32_e32 v99, vcc_lo, s9, v84, vcc_lo
	s_clause 0x2
	global_load_b128 v[83:86], v[98:99], off offset:560
	global_load_b128 v[87:90], v[98:99], off offset:576
	global_load_b64 v[98:99], v[98:99], off offset:592
	ds_load_2addr_b32 v[100:101], v68 offset0:160 offset1:176
	ds_load_2addr_b32 v[102:103], v4 offset0:64 offset1:80
	;; [unrolled: 1-line block ×7, first 2 shown]
	ds_load_b32 v34, v41
	ds_load_b32 v41, v74
	;; [unrolled: 1-line block ×4, first 2 shown]
	ds_load_2addr_b32 v[71:72], v4 offset0:128 offset1:144
	ds_load_2addr_b32 v[73:74], v4 offset0:32 offset1:48
	;; [unrolled: 1-line block ×4, first 2 shown]
	ds_load_2addr_b32 v[116:117], v4 offset1:16
	ds_load_2addr_b32 v[118:119], v4 offset0:160 offset1:176
	v_add3_u32 v27, v27, v28, v0
	v_mul_f32_e32 v0, v2, v45
	v_mul_f32_e32 v4, v5, v49
	s_wait_dscnt 0x10
	v_mul_f32_e32 v95, v100, v45
	s_wait_dscnt 0xf
	v_mul_f32_e32 v120, v102, v49
	v_mul_f32_e32 v28, v30, v47
	;; [unrolled: 1-line block ×3, first 2 shown]
	v_lshlrev_b64_e32 v[26:27], 3, v[26:27]
	v_fmac_f32_e32 v95, v2, v44
	s_wait_dscnt 0xe
	v_fmac_f32_e32 v121, v105, v43
	s_delay_alu instid0(VALU_DEP_3)
	v_add_co_u32 v26, vcc_lo, s6, v26
	s_wait_alu 0xfffd
	v_add_co_ci_u32_e32 v27, vcc_lo, s7, v27, vcc_lo
	s_wait_loadcnt 0xc
	v_mul_f32_e32 v123, v32, v10
	s_wait_loadcnt_dscnt 0xa0d
	v_dual_mul_f32 v30, v32, v11 :: v_dual_mul_f32 v49, v106, v57
	v_mul_f32_e32 v32, v29, v57
	v_mul_f32_e32 v45, v31, v53
	s_wait_dscnt 0x5
	v_mul_f32_e32 v53, v71, v53
	v_mul_f32_e32 v57, v55, v109
	s_wait_loadcnt_dscnt 0x903
	v_dual_mul_f32 v124, v51, v74 :: v_dual_mul_f32 v125, v70, v113
	v_dual_mul_f32 v51, v38, v51 :: v_dual_mul_f32 v70, v23, v70
	v_mul_f32_e32 v55, v36, v55
	v_fma_f32 v0, v100, v44, -v0
	v_fma_f32 v4, v102, v48, -v4
	v_dual_fmac_f32 v120, v5, v48 :: v_dual_fmac_f32 v123, v72, v11
	v_fmac_f32_e32 v122, v107, v47
	v_fma_f32 v2, v107, v46, -v28
	v_fma_f32 v5, v72, v10, -v30
	;; [unrolled: 1-line block ×3, first 2 shown]
	s_wait_loadcnt 0x7
	v_mul_f32_e32 v11, v21, v65
	v_dual_mul_f32 v10, v19, v61 :: v_dual_mul_f32 v43, v37, v62
	v_dual_mul_f32 v28, v111, v61 :: v_dual_mul_f32 v37, v37, v63
	s_wait_dscnt 0x2
	v_dual_mul_f32 v30, v115, v65 :: v_dual_fmac_f32 v49, v29, v56
	v_dual_mul_f32 v42, v35, v58 :: v_dual_add_f32 v47, v122, v123
	s_wait_loadcnt 0x6
	v_dual_mul_f32 v44, v92, v112 :: v_dual_mul_f32 v35, v35, v59
	v_dual_mul_f32 v46, v22, v92 :: v_dual_fmac_f32 v57, v36, v54
	v_fma_f32 v32, v56, v106, -v32
	v_fma_f32 v45, v52, v71, -v45
	v_dual_fmac_f32 v53, v31, v52 :: v_dual_fmac_f32 v124, v38, v50
	v_dual_fmac_f32 v125, v23, v69 :: v_dual_add_f32 v36, v0, v4
	v_fma_f32 v23, v50, v74, -v51
	v_fma_f32 v29, v69, v113, -v70
	;; [unrolled: 1-line block ×3, first 2 shown]
	v_dual_sub_f32 v48, v2, v5 :: v_dual_fmac_f32 v43, v73, v63
	v_add_f32_e32 v50, v2, v5
	v_add_f32_e32 v52, v66, v0
	;; [unrolled: 1-line block ×3, first 2 shown]
	s_wait_loadcnt 0x4
	v_dual_sub_f32 v0, v0, v4 :: v_dual_mul_f32 v55, v114, v82
	v_fma_f32 v10, v111, v60, -v10
	v_fma_f32 v11, v64, v115, -v11
	v_dual_fmac_f32 v28, v19, v60 :: v_dual_sub_f32 v61, v49, v53
	v_dual_fmac_f32 v30, v21, v64 :: v_dual_sub_f32 v63, v23, v29
	v_fmac_f32_e32 v42, v108, v59
	v_fmac_f32_e32 v44, v22, v91
	v_fma_f32 v19, v73, v62, -v37
	v_fma_f32 v21, v91, v112, -v46
	;; [unrolled: 1-line block ×3, first 2 shown]
	v_dual_mul_f32 v46, v110, v78 :: v_dual_sub_f32 v65, v124, v125
	v_dual_sub_f32 v38, v95, v120 :: v_dual_sub_f32 v51, v122, v123
	v_dual_add_f32 v54, v95, v120 :: v_dual_mul_f32 v35, v18, v78
	v_dual_mul_f32 v37, v20, v82 :: v_dual_mul_f32 v56, v13, v75
	v_dual_add_f32 v69, v104, v32 :: v_dual_mul_f32 v58, v15, v79
	v_add_f32_e32 v71, v57, v124
	s_wait_loadcnt 0x3
	v_mul_f32_e32 v59, v17, v96
	v_mul_f32_e32 v15, v15, v80
	;; [unrolled: 1-line block ×3, first 2 shown]
	v_dual_mul_f32 v13, v13, v76 :: v_dual_add_f32 v60, v32, v45
	v_add_f32_e32 v62, v124, v125
	v_add_f32_e32 v64, v23, v29
	v_dual_add_f32 v23, v31, v23 :: v_dual_add_f32 v70, v49, v53
	v_dual_add_f32 v49, v7, v49 :: v_dual_add_f32 v74, v52, v4
	v_fma_f32 v66, -0.5, v36, v66
	v_fma_f32 v72, -0.5, v47, v121
	v_fma_f32 v73, -0.5, v50, v8
	v_add_f32_e32 v78, v2, v5
	v_dual_add_f32 v2, v10, v11 :: v_dual_add_f32 v5, v19, v21
	s_wait_dscnt 0x0
	v_dual_sub_f32 v8, v28, v30 :: v_dual_fmac_f32 v59, v119, v97
	v_dual_add_f32 v4, v43, v44 :: v_dual_fmac_f32 v55, v20, v81
	v_sub_f32_e32 v36, v19, v21
	v_dual_sub_f32 v47, v43, v44 :: v_dual_add_f32 v50, v34, v10
	v_dual_add_f32 v19, v22, v19 :: v_dual_add_f32 v52, v28, v30
	v_dual_add_f32 v23, v23, v29 :: v_dual_add_f32 v28, v9, v28
	v_add_f32_e32 v29, v71, v125
	v_add_f32_e32 v43, v42, v43
	v_fmac_f32_e32 v46, v18, v77
	v_sub_f32_e32 v32, v32, v45
	v_fma_f32 v82, -0.5, v54, v33
	v_sub_f32_e32 v10, v10, v11
	v_fma_f32 v35, v110, v77, -v35
	v_fma_f32 v37, v114, v81, -v37
	v_dual_fmac_f32 v58, v117, v80 :: v_dual_add_f32 v19, v19, v21
	v_fma_f32 v15, v117, v79, -v15
	v_fma_f32 v17, v119, v96, -v17
	;; [unrolled: 1-line block ×3, first 2 shown]
	s_wait_loadcnt 0x2
	v_mul_f32_e32 v18, v3, v86
	s_wait_loadcnt 0x1
	v_dual_mul_f32 v20, v6, v90 :: v_dual_mul_f32 v75, v12, v83
	s_wait_loadcnt 0x0
	v_mul_f32_e32 v77, v16, v98
	v_mul_f32_e32 v16, v16, v99
	v_fma_f32 v60, -0.5, v60, v104
	v_fma_f32 v57, -0.5, v62, v57
	v_fmac_f32_e32 v75, v67, v84
	v_fma_f32 v31, -0.5, v64, v31
	v_dual_add_f32 v45, v69, v45 :: v_dual_fmac_f32 v56, v68, v76
	v_dual_add_f32 v11, v50, v11 :: v_dual_mul_f32 v68, v103, v90
	v_dual_mul_f32 v76, v14, v87 :: v_dual_add_f32 v21, v28, v30
	v_mul_f32_e32 v14, v14, v88
	v_fma_f32 v62, -0.5, v70, v7
	v_add_f32_e32 v7, v49, v53
	v_fmamk_f32 v49, v51, 0xbf5db3d7, v73
	v_dual_fmac_f32 v73, 0x3f5db3d7, v51 :: v_dual_mul_f32 v54, v101, v86
	v_dual_mul_f32 v12, v12, v84 :: v_dual_add_f32 v53, v46, v55
	v_fma_f32 v22, -0.5, v5, v22
	v_dual_add_f32 v28, v43, v44 :: v_dual_sub_f32 v43, v46, v55
	v_add_f32_e32 v46, v40, v46
	v_fmamk_f32 v64, v38, 0xbf5db3d7, v66
	v_fmamk_f32 v69, v48, 0x3f5db3d7, v72
	v_dual_fmac_f32 v66, 0x3f5db3d7, v38 :: v_dual_fmac_f32 v77, v118, v99
	v_fmac_f32_e32 v72, 0xbf5db3d7, v48
	v_fma_f32 v38, -0.5, v2, v34
	v_fma_f32 v34, -0.5, v4, v42
	;; [unrolled: 1-line block ×3, first 2 shown]
	v_add_f32_e32 v30, v35, v37
	v_dual_add_f32 v44, v58, v59 :: v_dual_fmamk_f32 v71, v63, 0x3f5db3d7, v57
	v_dual_sub_f32 v48, v15, v17 :: v_dual_add_f32 v5, v45, v23
	v_dual_add_f32 v50, v15, v17 :: v_dual_sub_f32 v51, v58, v59
	v_add_f32_e32 v52, v41, v35
	v_add_f32_e32 v15, v13, v15
	v_dual_sub_f32 v35, v35, v37 :: v_dual_add_f32 v58, v56, v58
	v_mul_f32_e32 v79, 0xbf5db3d7, v49
	v_fma_f32 v18, v101, v85, -v18
	v_fma_f32 v20, v103, v89, -v20
	v_fmac_f32_e32 v68, v6, v89
	v_dual_fmac_f32 v76, v116, v88 :: v_dual_add_f32 v9, v11, v19
	v_fma_f32 v14, v116, v87, -v14
	v_fma_f32 v70, v118, v98, -v16
	v_fma_f32 v12, v67, v83, -v12
	v_fmamk_f32 v16, v65, 0xbf5db3d7, v31
	v_dual_fmac_f32 v57, 0xbf5db3d7, v63 :: v_dual_sub_f32 v2, v7, v29
	v_add_f32_e32 v4, v7, v29
	v_mul_f32_e32 v63, 0.5, v73
	v_fmac_f32_e32 v54, v3, v85
	v_fmamk_f32 v29, v47, 0xbf5db3d7, v22
	v_sub_f32_e32 v7, v11, v19
	v_add_f32_e32 v19, v46, v55
	v_fmac_f32_e32 v22, 0x3f5db3d7, v47
	v_fmamk_f32 v67, v61, 0xbf5db3d7, v60
	v_fmac_f32_e32 v60, 0x3f5db3d7, v61
	v_fmac_f32_e32 v31, 0x3f5db3d7, v65
	v_sub_f32_e32 v3, v45, v23
	v_fmamk_f32 v61, v32, 0x3f5db3d7, v62
	v_dual_fmac_f32 v62, 0xbf5db3d7, v32 :: v_dual_add_f32 v11, v52, v37
	v_dual_mul_f32 v32, -0.5, v49 :: v_dual_sub_f32 v37, v14, v70
	v_fmamk_f32 v45, v8, 0xbf5db3d7, v38
	v_fmamk_f32 v23, v36, 0x3f5db3d7, v34
	v_fmac_f32_e32 v38, 0x3f5db3d7, v8
	v_fmac_f32_e32 v34, 0xbf5db3d7, v36
	v_fmamk_f32 v47, v10, 0x3f5db3d7, v42
	v_dual_fmac_f32 v42, 0xbf5db3d7, v10 :: v_dual_add_f32 v55, v75, v76
	v_dual_sub_f32 v6, v21, v28 :: v_dual_mul_f32 v65, 0xbf5db3d7, v31
	v_dual_add_f32 v8, v21, v28 :: v_dual_mul_f32 v81, 0xbf5db3d7, v29
	v_fma_f32 v49, -0.5, v30, v41
	v_fma_f32 v44, -0.5, v44, v56
	;; [unrolled: 1-line block ×3, first 2 shown]
	v_add_f32_e32 v13, v15, v17
	v_fma_f32 v50, -0.5, v53, v40
	v_dual_add_f32 v21, v58, v59 :: v_dual_add_f32 v36, v76, v77
	v_dual_mul_f32 v59, 0xbf5db3d7, v16 :: v_dual_add_f32 v40, v14, v70
	v_dual_fmac_f32 v63, 0x3f5db3d7, v72 :: v_dual_add_f32 v46, v93, v18
	v_dual_add_f32 v52, v12, v14 :: v_dual_sub_f32 v15, v11, v13
	v_add_f32_e32 v53, v54, v68
	v_dual_add_f32 v28, v18, v20 :: v_dual_mul_f32 v83, 0xbf5db3d7, v22
	v_dual_mul_f32 v56, -0.5, v16 :: v_dual_fmac_f32 v59, -0.5, v71
	v_dual_sub_f32 v30, v54, v68 :: v_dual_fmamk_f32 v85, v48, 0x3f5db3d7, v44
	v_dual_sub_f32 v41, v76, v77 :: v_dual_sub_f32 v18, v18, v20
	v_add_f32_e32 v17, v11, v13
	v_dual_fmac_f32 v32, 0x3f5db3d7, v69 :: v_dual_fmac_f32 v81, -0.5, v23
	v_mul_f32_e32 v76, -0.5, v29
	v_dual_mul_f32 v80, 0.5, v22 :: v_dual_fmac_f32 v65, 0.5, v57
	v_dual_fmamk_f32 v22, v51, 0xbf5db3d7, v10 :: v_dual_fmac_f32 v83, 0.5, v34
	v_fmamk_f32 v84, v43, 0xbf5db3d7, v49
	v_dual_fmac_f32 v49, 0x3f5db3d7, v43 :: v_dual_add_f32 v54, v39, v54
	v_dual_add_f32 v11, v46, v20 :: v_dual_mul_f32 v58, 0.5, v31
	v_fma_f32 v43, -0.5, v40, v12
	v_fmac_f32_e32 v56, 0x3f5db3d7, v71
	v_add_f32_e32 v12, v52, v70
	v_fmac_f32_e32 v10, 0x3f5db3d7, v51
	v_fma_f32 v86, -0.5, v28, v93
	v_sub_f32_e32 v14, v19, v21
	v_fma_f32 v51, -0.5, v36, v75
	v_fma_f32 v70, -0.5, v53, v39
	v_dual_add_f32 v16, v19, v21 :: v_dual_add_f32 v13, v54, v68
	v_dual_sub_f32 v19, v64, v32 :: v_dual_fmac_f32 v76, 0x3f5db3d7, v23
	v_dual_add_f32 v23, v11, v12 :: v_dual_fmac_f32 v58, 0x3f5db3d7, v57
	v_add_f32_e32 v29, v67, v56
	v_fmac_f32_e32 v44, 0xbf5db3d7, v48
	v_dual_fmamk_f32 v48, v35, 0x3f5db3d7, v50 :: v_dual_fmamk_f32 v57, v37, 0x3f5db3d7, v51
	v_fmamk_f32 v68, v41, 0xbf5db3d7, v43
	v_fmac_f32_e32 v43, 0x3f5db3d7, v41
	v_add_f32_e32 v31, v60, v58
	v_dual_mul_f32 v52, 0.5, v10 :: v_dual_add_f32 v39, v45, v76
	v_dual_fmac_f32 v50, 0xbf5db3d7, v35 :: v_dual_sub_f32 v21, v11, v12
	v_add_f32_e32 v28, v55, v77
	v_dual_fmac_f32 v80, 0x3f5db3d7, v34 :: v_dual_sub_f32 v35, v45, v76
	v_dual_mul_f32 v46, -0.5, v22 :: v_dual_fmac_f32 v51, 0xbf5db3d7, v37
	v_sub_f32_e32 v11, v67, v56
	s_delay_alu instid0(VALU_DEP_3) | instskip(SKIP_4) | instid1(VALU_DEP_3)
	v_sub_f32_e32 v37, v38, v80
	v_dual_fmac_f32 v52, 0x3f5db3d7, v44 :: v_dual_add_f32 v33, v33, v95
	v_dual_mul_f32 v56, 0.5, v43 :: v_dual_mul_f32 v53, 0xbf5db3d7, v22
	v_dual_mul_f32 v54, 0xbf5db3d7, v10 :: v_dual_add_f32 v41, v38, v80
	v_fmamk_f32 v55, v30, 0xbf5db3d7, v86
	v_dual_fmac_f32 v86, 0x3f5db3d7, v30 :: v_dual_fmac_f32 v53, -0.5, v85
	v_sub_f32_e32 v10, v61, v59
	v_dual_add_f32 v40, v42, v83 :: v_dual_fmac_f32 v79, -0.5, v69
	v_fmac_f32_e32 v46, 0x3f5db3d7, v85
	v_sub_f32_e32 v20, v13, v28
	v_dual_add_f32 v22, v13, v28 :: v_dual_sub_f32 v13, v60, v58
	v_dual_add_f32 v69, v33, v120 :: v_dual_fmac_f32 v56, 0x3f5db3d7, v51
	v_add_f32_e32 v28, v61, v59
	v_dual_mul_f32 v59, 0xbf5db3d7, v43 :: v_dual_mul_f32 v58, 0xbf5db3d7, v68
	v_fmamk_f32 v71, v18, 0x3f5db3d7, v70
	v_dual_fmac_f32 v70, 0xbf5db3d7, v18 :: v_dual_sub_f32 v45, v49, v52
	v_fmac_f32_e32 v54, 0.5, v44
	v_mul_f32_e32 v18, -0.5, v68
	v_fmac_f32_e32 v58, -0.5, v57
	v_dual_sub_f32 v12, v62, v65 :: v_dual_add_f32 v49, v49, v52
	v_dual_add_f32 v30, v62, v65 :: v_dual_fmac_f32 v59, 0.5, v51
	v_sub_f32_e32 v34, v47, v81
	v_add_f32_e32 v38, v47, v81
	v_fmac_f32_e32 v18, 0x3f5db3d7, v57
	v_sub_f32_e32 v36, v42, v83
	v_dual_sub_f32 v42, v48, v53 :: v_dual_sub_f32 v61, v74, v78
	v_sub_f32_e32 v43, v84, v46
	v_add_f32_e32 v47, v84, v46
	v_dual_add_f32 v46, v48, v53 :: v_dual_add_f32 v65, v121, v122
	v_dual_sub_f32 v44, v50, v54 :: v_dual_add_f32 v33, v64, v32
	v_add_f32_e32 v48, v50, v54
	v_sub_f32_e32 v50, v71, v58
	v_add_f32_e32 v54, v71, v58
	v_mul_hi_u32 v58, 0xcccccccd, v94
	v_fmamk_f32 v60, v0, 0x3f5db3d7, v82
	v_fmac_f32_e32 v82, 0xbf5db3d7, v0
	v_dual_sub_f32 v53, v86, v56 :: v_dual_add_nc_u32 v0, 16, v94
	v_sub_f32_e32 v52, v70, v59
	v_add_f32_e32 v57, v86, v56
	v_add_f32_e32 v56, v70, v59
	v_lshrrev_b32_e32 v67, 6, v58
	v_mul_hi_u32 v68, 0xcccccccd, v0
	v_sub_f32_e32 v59, v66, v63
	v_dual_add_f32 v63, v66, v63 :: v_dual_mul_f32 v62, 0xbf5db3d7, v73
	s_delay_alu instid0(VALU_DEP_4)
	v_mul_lo_u32 v67, 0x50, v67
	v_dual_add_f32 v70, v65, v123 :: v_dual_add_f32 v65, v74, v78
	v_sub_f32_e32 v51, v55, v18
	v_lshrrev_b32_e32 v32, 6, v68
	v_add_co_u32 v68, vcc_lo, v26, v24
	s_wait_alu 0xfffd
	v_add_co_ci_u32_e32 v71, vcc_lo, v27, v25, vcc_lo
	v_sub_nc_u32_e32 v66, v94, v67
	v_mul_lo_u32 v67, 0x50, v32
	v_fmac_f32_e32 v62, 0.5, v72
	v_add_f32_e32 v64, v69, v70
	v_add_f32_e32 v55, v55, v18
	v_lshlrev_b32_e32 v66, 3, v66
	v_sub_f32_e32 v18, v60, v79
	v_sub_f32_e32 v58, v82, v62
	v_add_f32_e32 v62, v82, v62
	v_sub_nc_u32_e32 v0, v0, v67
	v_add_co_u32 v24, vcc_lo, v68, v66
	s_wait_alu 0xfffd
	v_add_co_ci_u32_e32 v25, vcc_lo, 0, v71, vcc_lo
	s_delay_alu instid0(VALU_DEP_3)
	v_mad_co_u64_u32 v[26:27], null, 0x1e0, v32, v[0:1]
	v_add_f32_e32 v32, v60, v79
	v_sub_f32_e32 v60, v69, v70
	v_mov_b32_e32 v27, v1
	s_clause 0x3
	global_store_b64 v[24:25], v[64:65], off
	global_store_b64 v[24:25], v[62:63], off offset:640
	global_store_b64 v[24:25], v[32:33], off offset:1280
	;; [unrolled: 1-line block ×3, first 2 shown]
	v_add_nc_u32_e32 v62, 32, v94
	s_clause 0x1
	global_store_b64 v[24:25], v[58:59], off offset:2560
	global_store_b64 v[24:25], v[18:19], off offset:3200
	v_add_nc_u32_e32 v0, 0x50, v26
	v_lshlrev_b64_e32 v[32:33], 3, v[26:27]
	v_mul_hi_u32 v27, 0xcccccccd, v62
	s_delay_alu instid0(VALU_DEP_3) | instskip(SKIP_1) | instid1(VALU_DEP_4)
	v_lshlrev_b64_e32 v[18:19], 3, v[0:1]
	v_add_nc_u32_e32 v0, 0xa0, v26
	v_add_co_u32 v24, vcc_lo, v68, v32
	s_wait_alu 0xfffd
	v_add_co_ci_u32_e32 v25, vcc_lo, v71, v33, vcc_lo
	v_lshrrev_b32_e32 v27, 6, v27
	v_lshlrev_b64_e32 v[32:33], 3, v[0:1]
	v_add_nc_u32_e32 v0, 0xf0, v26
	v_add_co_u32 v18, vcc_lo, v68, v18
	s_delay_alu instid0(VALU_DEP_4)
	v_mul_lo_u32 v63, 0x50, v27
	s_wait_alu 0xfffd
	v_add_co_ci_u32_e32 v19, vcc_lo, v71, v19, vcc_lo
	v_lshlrev_b64_e32 v[58:59], 3, v[0:1]
	v_add_nc_u32_e32 v0, 0x140, v26
	v_add_co_u32 v32, vcc_lo, v68, v32
	s_wait_alu 0xfffd
	v_add_co_ci_u32_e32 v33, vcc_lo, v71, v33, vcc_lo
	s_delay_alu instid0(VALU_DEP_3)
	v_lshlrev_b64_e32 v[60:61], 3, v[0:1]
	v_add_nc_u32_e32 v0, 0x190, v26
	v_sub_nc_u32_e32 v26, v62, v63
	v_add_co_u32 v58, vcc_lo, v68, v58
	s_wait_alu 0xfffd
	v_add_co_ci_u32_e32 v59, vcc_lo, v71, v59, vcc_lo
	s_delay_alu instid0(VALU_DEP_3)
	v_mad_co_u64_u32 v[26:27], null, 0x1e0, v27, v[26:27]
	v_mov_b32_e32 v27, v1
	s_clause 0x3
	global_store_b64 v[24:25], v[22:23], off
	global_store_b64 v[18:19], v[56:57], off
	global_store_b64 v[32:33], v[54:55], off
	global_store_b64 v[58:59], v[20:21], off
	v_lshlrev_b64_e32 v[62:63], 3, v[0:1]
	v_add_co_u32 v60, vcc_lo, v68, v60
	s_wait_alu 0xfffd
	v_add_co_ci_u32_e32 v61, vcc_lo, v71, v61, vcc_lo
	v_lshlrev_b64_e32 v[18:19], 3, v[26:27]
	v_add_nc_u32_e32 v27, 48, v94
	v_add_nc_u32_e32 v0, 0x50, v26
	v_add_co_u32 v62, vcc_lo, v68, v62
	s_wait_alu 0xfffd
	v_add_co_ci_u32_e32 v63, vcc_lo, v71, v63, vcc_lo
	v_mul_hi_u32 v32, 0xcccccccd, v27
	v_lshlrev_b64_e32 v[20:21], 3, v[0:1]
	v_add_nc_u32_e32 v0, 0xa0, v26
	s_clause 0x1
	global_store_b64 v[60:61], v[52:53], off
	global_store_b64 v[62:63], v[50:51], off
	v_add_co_u32 v18, vcc_lo, v68, v18
	s_wait_alu 0xfffd
	v_add_co_ci_u32_e32 v19, vcc_lo, v71, v19, vcc_lo
	v_lshrrev_b32_e32 v50, 6, v32
	v_lshlrev_b64_e32 v[22:23], 3, v[0:1]
	v_add_nc_u32_e32 v0, 0xf0, v26
	v_add_co_u32 v20, vcc_lo, v68, v20
	s_delay_alu instid0(VALU_DEP_4)
	v_mul_lo_u32 v51, 0x50, v50
	s_wait_alu 0xfffd
	v_add_co_ci_u32_e32 v21, vcc_lo, v71, v21, vcc_lo
	v_lshlrev_b64_e32 v[24:25], 3, v[0:1]
	v_add_nc_u32_e32 v0, 0x140, v26
	v_add_co_u32 v22, vcc_lo, v68, v22
	s_wait_alu 0xfffd
	v_add_co_ci_u32_e32 v23, vcc_lo, v71, v23, vcc_lo
	s_delay_alu instid0(VALU_DEP_3)
	v_lshlrev_b64_e32 v[32:33], 3, v[0:1]
	v_add_nc_u32_e32 v0, 0x190, v26
	v_sub_nc_u32_e32 v26, v27, v51
	v_add_co_u32 v24, vcc_lo, v68, v24
	s_wait_alu 0xfffd
	v_add_co_ci_u32_e32 v25, vcc_lo, v71, v25, vcc_lo
	s_clause 0x3
	global_store_b64 v[18:19], v[16:17], off
	global_store_b64 v[20:21], v[48:49], off
	;; [unrolled: 1-line block ×4, first 2 shown]
	v_mad_co_u64_u32 v[16:17], null, 0x1e0, v50, v[26:27]
	v_lshlrev_b64_e32 v[14:15], 3, v[0:1]
	v_add_nc_u32_e32 v25, 64, v94
	v_add_co_u32 v18, vcc_lo, v68, v32
	s_wait_alu 0xfffd
	v_add_co_ci_u32_e32 v19, vcc_lo, v71, v33, vcc_lo
	v_mov_b32_e32 v17, v1
	v_add_co_u32 v14, vcc_lo, v68, v14
	v_mul_hi_u32 v22, 0xcccccccd, v25
	v_add_nc_u32_e32 v0, 0x50, v16
	s_wait_alu 0xfffd
	v_add_co_ci_u32_e32 v15, vcc_lo, v71, v15, vcc_lo
	v_lshlrev_b64_e32 v[20:21], 3, v[16:17]
	s_clause 0x1
	global_store_b64 v[18:19], v[44:45], off
	global_store_b64 v[14:15], v[42:43], off
	v_lshlrev_b64_e32 v[14:15], 3, v[0:1]
	v_add_nc_u32_e32 v0, 0xa0, v16
	v_lshrrev_b32_e32 v27, 6, v22
	v_add_co_u32 v17, vcc_lo, v68, v20
	s_wait_alu 0xfffd
	v_add_co_ci_u32_e32 v18, vcc_lo, v71, v21, vcc_lo
	v_lshlrev_b64_e32 v[19:20], 3, v[0:1]
	v_add_nc_u32_e32 v0, 0xf0, v16
	v_mul_lo_u32 v26, 0x50, v27
	v_add_co_u32 v14, vcc_lo, v68, v14
	s_wait_alu 0xfffd
	v_add_co_ci_u32_e32 v15, vcc_lo, v71, v15, vcc_lo
	v_lshlrev_b64_e32 v[21:22], 3, v[0:1]
	v_add_nc_u32_e32 v0, 0x140, v16
	v_add_co_u32 v19, vcc_lo, v68, v19
	s_wait_alu 0xfffd
	v_add_co_ci_u32_e32 v20, vcc_lo, v71, v20, vcc_lo
	s_delay_alu instid0(VALU_DEP_3)
	v_lshlrev_b64_e32 v[23:24], 3, v[0:1]
	v_add_nc_u32_e32 v0, 0x190, v16
	v_sub_nc_u32_e32 v16, v25, v26
	v_add_co_u32 v21, vcc_lo, v68, v21
	s_wait_alu 0xfffd
	v_add_co_ci_u32_e32 v22, vcc_lo, v71, v22, vcc_lo
	s_delay_alu instid0(VALU_DEP_3)
	v_mad_co_u64_u32 v[32:33], null, 0x1e0, v27, v[16:17]
	v_mov_b32_e32 v33, v1
	v_lshlrev_b64_e32 v[25:26], 3, v[0:1]
	s_clause 0x3
	global_store_b64 v[17:18], v[8:9], off
	global_store_b64 v[14:15], v[40:41], off
	;; [unrolled: 1-line block ×4, first 2 shown]
	v_add_co_u32 v23, vcc_lo, v68, v23
	s_wait_alu 0xfffd
	v_add_co_ci_u32_e32 v24, vcc_lo, v71, v24, vcc_lo
	v_add_nc_u32_e32 v0, 0x50, v32
	v_lshlrev_b64_e32 v[6:7], 3, v[32:33]
	v_add_co_u32 v25, vcc_lo, v68, v25
	s_wait_alu 0xfffd
	v_add_co_ci_u32_e32 v26, vcc_lo, v71, v26, vcc_lo
	v_lshlrev_b64_e32 v[8:9], 3, v[0:1]
	v_add_nc_u32_e32 v0, 0xa0, v32
	v_add_co_u32 v6, vcc_lo, v68, v6
	s_wait_alu 0xfffd
	v_add_co_ci_u32_e32 v7, vcc_lo, v71, v7, vcc_lo
	s_delay_alu instid0(VALU_DEP_3) | instskip(SKIP_4) | instid1(VALU_DEP_3)
	v_lshlrev_b64_e32 v[14:15], 3, v[0:1]
	v_add_nc_u32_e32 v0, 0xf0, v32
	v_add_co_u32 v8, vcc_lo, v68, v8
	s_wait_alu 0xfffd
	v_add_co_ci_u32_e32 v9, vcc_lo, v71, v9, vcc_lo
	v_lshlrev_b64_e32 v[16:17], 3, v[0:1]
	v_add_nc_u32_e32 v0, 0x140, v32
	v_add_co_u32 v14, vcc_lo, v68, v14
	s_wait_alu 0xfffd
	v_add_co_ci_u32_e32 v15, vcc_lo, v71, v15, vcc_lo
	s_delay_alu instid0(VALU_DEP_3) | instskip(SKIP_4) | instid1(VALU_DEP_3)
	v_lshlrev_b64_e32 v[18:19], 3, v[0:1]
	v_add_nc_u32_e32 v0, 0x190, v32
	v_add_co_u32 v16, vcc_lo, v68, v16
	s_wait_alu 0xfffd
	v_add_co_ci_u32_e32 v17, vcc_lo, v71, v17, vcc_lo
	v_lshlrev_b64_e32 v[0:1], 3, v[0:1]
	v_add_co_u32 v18, vcc_lo, v68, v18
	s_wait_alu 0xfffd
	v_add_co_ci_u32_e32 v19, vcc_lo, v71, v19, vcc_lo
	s_clause 0x1
	global_store_b64 v[23:24], v[36:37], off
	global_store_b64 v[25:26], v[34:35], off
	v_add_co_u32 v0, vcc_lo, v68, v0
	s_wait_alu 0xfffd
	v_add_co_ci_u32_e32 v1, vcc_lo, v71, v1, vcc_lo
	s_clause 0x5
	global_store_b64 v[6:7], v[4:5], off
	global_store_b64 v[8:9], v[30:31], off
	;; [unrolled: 1-line block ×6, first 2 shown]
.LBB0_23:
	s_nop 0
	s_sendmsg sendmsg(MSG_DEALLOC_VGPRS)
	s_endpgm
	.section	.rodata,"a",@progbits
	.p2align	6, 0x0
	.amdhsa_kernel fft_rtc_back_len480_factors_10_8_6_wgs_64_tpt_16_halfLds_sp_op_CI_CI_unitstride_sbrr_dirReg
		.amdhsa_group_segment_fixed_size 0
		.amdhsa_private_segment_fixed_size 0
		.amdhsa_kernarg_size 104
		.amdhsa_user_sgpr_count 2
		.amdhsa_user_sgpr_dispatch_ptr 0
		.amdhsa_user_sgpr_queue_ptr 0
		.amdhsa_user_sgpr_kernarg_segment_ptr 1
		.amdhsa_user_sgpr_dispatch_id 0
		.amdhsa_user_sgpr_private_segment_size 0
		.amdhsa_wavefront_size32 1
		.amdhsa_uses_dynamic_stack 0
		.amdhsa_enable_private_segment 0
		.amdhsa_system_sgpr_workgroup_id_x 1
		.amdhsa_system_sgpr_workgroup_id_y 0
		.amdhsa_system_sgpr_workgroup_id_z 0
		.amdhsa_system_sgpr_workgroup_info 0
		.amdhsa_system_vgpr_workitem_id 0
		.amdhsa_next_free_vgpr 145
		.amdhsa_next_free_sgpr 39
		.amdhsa_reserve_vcc 1
		.amdhsa_float_round_mode_32 0
		.amdhsa_float_round_mode_16_64 0
		.amdhsa_float_denorm_mode_32 3
		.amdhsa_float_denorm_mode_16_64 3
		.amdhsa_fp16_overflow 0
		.amdhsa_workgroup_processor_mode 1
		.amdhsa_memory_ordered 1
		.amdhsa_forward_progress 0
		.amdhsa_round_robin_scheduling 0
		.amdhsa_exception_fp_ieee_invalid_op 0
		.amdhsa_exception_fp_denorm_src 0
		.amdhsa_exception_fp_ieee_div_zero 0
		.amdhsa_exception_fp_ieee_overflow 0
		.amdhsa_exception_fp_ieee_underflow 0
		.amdhsa_exception_fp_ieee_inexact 0
		.amdhsa_exception_int_div_zero 0
	.end_amdhsa_kernel
	.text
.Lfunc_end0:
	.size	fft_rtc_back_len480_factors_10_8_6_wgs_64_tpt_16_halfLds_sp_op_CI_CI_unitstride_sbrr_dirReg, .Lfunc_end0-fft_rtc_back_len480_factors_10_8_6_wgs_64_tpt_16_halfLds_sp_op_CI_CI_unitstride_sbrr_dirReg
                                        ; -- End function
	.section	.AMDGPU.csdata,"",@progbits
; Kernel info:
; codeLenInByte = 12564
; NumSgprs: 41
; NumVgprs: 145
; ScratchSize: 0
; MemoryBound: 0
; FloatMode: 240
; IeeeMode: 1
; LDSByteSize: 0 bytes/workgroup (compile time only)
; SGPRBlocks: 5
; VGPRBlocks: 18
; NumSGPRsForWavesPerEU: 41
; NumVGPRsForWavesPerEU: 145
; Occupancy: 9
; WaveLimiterHint : 1
; COMPUTE_PGM_RSRC2:SCRATCH_EN: 0
; COMPUTE_PGM_RSRC2:USER_SGPR: 2
; COMPUTE_PGM_RSRC2:TRAP_HANDLER: 0
; COMPUTE_PGM_RSRC2:TGID_X_EN: 1
; COMPUTE_PGM_RSRC2:TGID_Y_EN: 0
; COMPUTE_PGM_RSRC2:TGID_Z_EN: 0
; COMPUTE_PGM_RSRC2:TIDIG_COMP_CNT: 0
	.text
	.p2alignl 7, 3214868480
	.fill 96, 4, 3214868480
	.type	__hip_cuid_22d7786ec720b56c,@object ; @__hip_cuid_22d7786ec720b56c
	.section	.bss,"aw",@nobits
	.globl	__hip_cuid_22d7786ec720b56c
__hip_cuid_22d7786ec720b56c:
	.byte	0                               ; 0x0
	.size	__hip_cuid_22d7786ec720b56c, 1

	.ident	"AMD clang version 19.0.0git (https://github.com/RadeonOpenCompute/llvm-project roc-6.4.0 25133 c7fe45cf4b819c5991fe208aaa96edf142730f1d)"
	.section	".note.GNU-stack","",@progbits
	.addrsig
	.addrsig_sym __hip_cuid_22d7786ec720b56c
	.amdgpu_metadata
---
amdhsa.kernels:
  - .args:
      - .actual_access:  read_only
        .address_space:  global
        .offset:         0
        .size:           8
        .value_kind:     global_buffer
      - .offset:         8
        .size:           8
        .value_kind:     by_value
      - .actual_access:  read_only
        .address_space:  global
        .offset:         16
        .size:           8
        .value_kind:     global_buffer
      - .actual_access:  read_only
        .address_space:  global
        .offset:         24
        .size:           8
        .value_kind:     global_buffer
      - .actual_access:  read_only
        .address_space:  global
        .offset:         32
        .size:           8
        .value_kind:     global_buffer
      - .offset:         40
        .size:           8
        .value_kind:     by_value
      - .actual_access:  read_only
        .address_space:  global
        .offset:         48
        .size:           8
        .value_kind:     global_buffer
      - .actual_access:  read_only
        .address_space:  global
        .offset:         56
        .size:           8
        .value_kind:     global_buffer
      - .offset:         64
        .size:           4
        .value_kind:     by_value
      - .actual_access:  read_only
        .address_space:  global
        .offset:         72
        .size:           8
        .value_kind:     global_buffer
      - .actual_access:  read_only
        .address_space:  global
        .offset:         80
        .size:           8
        .value_kind:     global_buffer
      - .actual_access:  read_only
        .address_space:  global
        .offset:         88
        .size:           8
        .value_kind:     global_buffer
      - .actual_access:  write_only
        .address_space:  global
        .offset:         96
        .size:           8
        .value_kind:     global_buffer
    .group_segment_fixed_size: 0
    .kernarg_segment_align: 8
    .kernarg_segment_size: 104
    .language:       OpenCL C
    .language_version:
      - 2
      - 0
    .max_flat_workgroup_size: 64
    .name:           fft_rtc_back_len480_factors_10_8_6_wgs_64_tpt_16_halfLds_sp_op_CI_CI_unitstride_sbrr_dirReg
    .private_segment_fixed_size: 0
    .sgpr_count:     41
    .sgpr_spill_count: 0
    .symbol:         fft_rtc_back_len480_factors_10_8_6_wgs_64_tpt_16_halfLds_sp_op_CI_CI_unitstride_sbrr_dirReg.kd
    .uniform_work_group_size: 1
    .uses_dynamic_stack: false
    .vgpr_count:     145
    .vgpr_spill_count: 0
    .wavefront_size: 32
    .workgroup_processor_mode: 1
amdhsa.target:   amdgcn-amd-amdhsa--gfx1201
amdhsa.version:
  - 1
  - 2
...

	.end_amdgpu_metadata
